;; amdgpu-corpus repo=ROCm/rocFFT kind=compiled arch=gfx1201 opt=O3
	.text
	.amdgcn_target "amdgcn-amd-amdhsa--gfx1201"
	.amdhsa_code_object_version 6
	.protected	fft_rtc_back_len2250_factors_10_3_5_3_5_wgs_90_tpt_90_halfLds_sp_ip_CI_sbrr_dirReg ; -- Begin function fft_rtc_back_len2250_factors_10_3_5_3_5_wgs_90_tpt_90_halfLds_sp_ip_CI_sbrr_dirReg
	.globl	fft_rtc_back_len2250_factors_10_3_5_3_5_wgs_90_tpt_90_halfLds_sp_ip_CI_sbrr_dirReg
	.p2align	8
	.type	fft_rtc_back_len2250_factors_10_3_5_3_5_wgs_90_tpt_90_halfLds_sp_ip_CI_sbrr_dirReg,@function
fft_rtc_back_len2250_factors_10_3_5_3_5_wgs_90_tpt_90_halfLds_sp_ip_CI_sbrr_dirReg: ; @fft_rtc_back_len2250_factors_10_3_5_3_5_wgs_90_tpt_90_halfLds_sp_ip_CI_sbrr_dirReg
; %bb.0:
	s_clause 0x2
	s_load_b64 s[12:13], s[0:1], 0x18
	s_load_b128 s[4:7], s[0:1], 0x0
	s_load_b64 s[10:11], s[0:1], 0x50
	v_mul_u32_u24_e32 v1, 0x2d9, v0
	v_mov_b32_e32 v3, 0
	s_delay_alu instid0(VALU_DEP_2) | instskip(NEXT) | instid1(VALU_DEP_1)
	v_lshrrev_b32_e32 v1, 16, v1
	v_add_nc_u32_e32 v5, ttmp9, v1
	v_mov_b32_e32 v1, 0
	v_mov_b32_e32 v2, 0
	;; [unrolled: 1-line block ×3, first 2 shown]
	s_wait_kmcnt 0x0
	s_load_b64 s[8:9], s[12:13], 0x0
	v_cmp_lt_u64_e64 s2, s[6:7], 2
	s_delay_alu instid0(VALU_DEP_1)
	s_and_b32 vcc_lo, exec_lo, s2
	s_cbranch_vccnz .LBB0_8
; %bb.1:
	s_load_b64 s[2:3], s[0:1], 0x10
	v_mov_b32_e32 v1, 0
	v_mov_b32_e32 v2, 0
	s_add_nc_u64 s[14:15], s[12:13], 8
	s_mov_b64 s[16:17], 1
	s_wait_kmcnt 0x0
	s_add_nc_u64 s[18:19], s[2:3], 8
	s_mov_b32 s3, 0
.LBB0_2:                                ; =>This Inner Loop Header: Depth=1
	s_load_b64 s[20:21], s[18:19], 0x0
                                        ; implicit-def: $vgpr7_vgpr8
	s_mov_b32 s2, exec_lo
	s_wait_kmcnt 0x0
	v_or_b32_e32 v4, s21, v6
	s_delay_alu instid0(VALU_DEP_1)
	v_cmpx_ne_u64_e32 0, v[3:4]
	s_wait_alu 0xfffe
	s_xor_b32 s22, exec_lo, s2
	s_cbranch_execz .LBB0_4
; %bb.3:                                ;   in Loop: Header=BB0_2 Depth=1
	s_cvt_f32_u32 s2, s20
	s_cvt_f32_u32 s23, s21
	s_sub_nc_u64 s[26:27], 0, s[20:21]
	s_wait_alu 0xfffe
	s_delay_alu instid0(SALU_CYCLE_1) | instskip(SKIP_1) | instid1(SALU_CYCLE_2)
	s_fmamk_f32 s2, s23, 0x4f800000, s2
	s_wait_alu 0xfffe
	v_s_rcp_f32 s2, s2
	s_delay_alu instid0(TRANS32_DEP_1) | instskip(SKIP_1) | instid1(SALU_CYCLE_2)
	s_mul_f32 s2, s2, 0x5f7ffffc
	s_wait_alu 0xfffe
	s_mul_f32 s23, s2, 0x2f800000
	s_wait_alu 0xfffe
	s_delay_alu instid0(SALU_CYCLE_2) | instskip(SKIP_1) | instid1(SALU_CYCLE_2)
	s_trunc_f32 s23, s23
	s_wait_alu 0xfffe
	s_fmamk_f32 s2, s23, 0xcf800000, s2
	s_cvt_u32_f32 s25, s23
	s_wait_alu 0xfffe
	s_delay_alu instid0(SALU_CYCLE_1) | instskip(SKIP_1) | instid1(SALU_CYCLE_2)
	s_cvt_u32_f32 s24, s2
	s_wait_alu 0xfffe
	s_mul_u64 s[28:29], s[26:27], s[24:25]
	s_wait_alu 0xfffe
	s_mul_hi_u32 s31, s24, s29
	s_mul_i32 s30, s24, s29
	s_mul_hi_u32 s2, s24, s28
	s_mul_i32 s33, s25, s28
	s_wait_alu 0xfffe
	s_add_nc_u64 s[30:31], s[2:3], s[30:31]
	s_mul_hi_u32 s23, s25, s28
	s_mul_hi_u32 s34, s25, s29
	s_add_co_u32 s2, s30, s33
	s_wait_alu 0xfffe
	s_add_co_ci_u32 s2, s31, s23
	s_mul_i32 s28, s25, s29
	s_add_co_ci_u32 s29, s34, 0
	s_wait_alu 0xfffe
	s_add_nc_u64 s[28:29], s[2:3], s[28:29]
	s_wait_alu 0xfffe
	v_add_co_u32 v4, s2, s24, s28
	s_delay_alu instid0(VALU_DEP_1) | instskip(SKIP_1) | instid1(VALU_DEP_1)
	s_cmp_lg_u32 s2, 0
	s_add_co_ci_u32 s25, s25, s29
	v_readfirstlane_b32 s24, v4
	s_wait_alu 0xfffe
	s_delay_alu instid0(VALU_DEP_1)
	s_mul_u64 s[26:27], s[26:27], s[24:25]
	s_wait_alu 0xfffe
	s_mul_hi_u32 s29, s24, s27
	s_mul_i32 s28, s24, s27
	s_mul_hi_u32 s2, s24, s26
	s_mul_i32 s30, s25, s26
	s_wait_alu 0xfffe
	s_add_nc_u64 s[28:29], s[2:3], s[28:29]
	s_mul_hi_u32 s23, s25, s26
	s_mul_hi_u32 s24, s25, s27
	s_wait_alu 0xfffe
	s_add_co_u32 s2, s28, s30
	s_add_co_ci_u32 s2, s29, s23
	s_mul_i32 s26, s25, s27
	s_add_co_ci_u32 s27, s24, 0
	s_wait_alu 0xfffe
	s_add_nc_u64 s[26:27], s[2:3], s[26:27]
	s_wait_alu 0xfffe
	v_add_co_u32 v4, s2, v4, s26
	s_delay_alu instid0(VALU_DEP_1) | instskip(SKIP_1) | instid1(VALU_DEP_1)
	s_cmp_lg_u32 s2, 0
	s_add_co_ci_u32 s2, s25, s27
	v_mul_hi_u32 v13, v5, v4
	s_wait_alu 0xfffe
	v_mad_co_u64_u32 v[7:8], null, v5, s2, 0
	v_mad_co_u64_u32 v[9:10], null, v6, v4, 0
	;; [unrolled: 1-line block ×3, first 2 shown]
	s_delay_alu instid0(VALU_DEP_3) | instskip(SKIP_1) | instid1(VALU_DEP_4)
	v_add_co_u32 v4, vcc_lo, v13, v7
	s_wait_alu 0xfffd
	v_add_co_ci_u32_e32 v7, vcc_lo, 0, v8, vcc_lo
	s_delay_alu instid0(VALU_DEP_2) | instskip(SKIP_1) | instid1(VALU_DEP_2)
	v_add_co_u32 v4, vcc_lo, v4, v9
	s_wait_alu 0xfffd
	v_add_co_ci_u32_e32 v4, vcc_lo, v7, v10, vcc_lo
	s_wait_alu 0xfffd
	v_add_co_ci_u32_e32 v7, vcc_lo, 0, v12, vcc_lo
	s_delay_alu instid0(VALU_DEP_2) | instskip(SKIP_1) | instid1(VALU_DEP_2)
	v_add_co_u32 v4, vcc_lo, v4, v11
	s_wait_alu 0xfffd
	v_add_co_ci_u32_e32 v9, vcc_lo, 0, v7, vcc_lo
	s_delay_alu instid0(VALU_DEP_2) | instskip(SKIP_1) | instid1(VALU_DEP_3)
	v_mul_lo_u32 v10, s21, v4
	v_mad_co_u64_u32 v[7:8], null, s20, v4, 0
	v_mul_lo_u32 v11, s20, v9
	s_delay_alu instid0(VALU_DEP_2) | instskip(NEXT) | instid1(VALU_DEP_2)
	v_sub_co_u32 v7, vcc_lo, v5, v7
	v_add3_u32 v8, v8, v11, v10
	s_delay_alu instid0(VALU_DEP_1) | instskip(SKIP_1) | instid1(VALU_DEP_1)
	v_sub_nc_u32_e32 v10, v6, v8
	s_wait_alu 0xfffd
	v_subrev_co_ci_u32_e64 v10, s2, s21, v10, vcc_lo
	v_add_co_u32 v11, s2, v4, 2
	s_wait_alu 0xf1ff
	v_add_co_ci_u32_e64 v12, s2, 0, v9, s2
	v_sub_co_u32 v13, s2, v7, s20
	v_sub_co_ci_u32_e32 v8, vcc_lo, v6, v8, vcc_lo
	s_wait_alu 0xf1ff
	v_subrev_co_ci_u32_e64 v10, s2, 0, v10, s2
	s_delay_alu instid0(VALU_DEP_3) | instskip(NEXT) | instid1(VALU_DEP_3)
	v_cmp_le_u32_e32 vcc_lo, s20, v13
	v_cmp_eq_u32_e64 s2, s21, v8
	s_wait_alu 0xfffd
	v_cndmask_b32_e64 v13, 0, -1, vcc_lo
	v_cmp_le_u32_e32 vcc_lo, s21, v10
	s_wait_alu 0xfffd
	v_cndmask_b32_e64 v14, 0, -1, vcc_lo
	v_cmp_le_u32_e32 vcc_lo, s20, v7
	;; [unrolled: 3-line block ×3, first 2 shown]
	s_wait_alu 0xfffd
	v_cndmask_b32_e64 v15, 0, -1, vcc_lo
	v_cmp_eq_u32_e32 vcc_lo, s21, v10
	s_wait_alu 0xf1ff
	s_delay_alu instid0(VALU_DEP_2)
	v_cndmask_b32_e64 v7, v15, v7, s2
	s_wait_alu 0xfffd
	v_cndmask_b32_e32 v10, v14, v13, vcc_lo
	v_add_co_u32 v13, vcc_lo, v4, 1
	s_wait_alu 0xfffd
	v_add_co_ci_u32_e32 v14, vcc_lo, 0, v9, vcc_lo
	s_delay_alu instid0(VALU_DEP_3) | instskip(SKIP_2) | instid1(VALU_DEP_3)
	v_cmp_ne_u32_e32 vcc_lo, 0, v10
	s_wait_alu 0xfffd
	v_cndmask_b32_e32 v10, v13, v11, vcc_lo
	v_cndmask_b32_e32 v8, v14, v12, vcc_lo
	v_cmp_ne_u32_e32 vcc_lo, 0, v7
	s_wait_alu 0xfffd
	s_delay_alu instid0(VALU_DEP_2)
	v_dual_cndmask_b32 v7, v4, v10 :: v_dual_cndmask_b32 v8, v9, v8
.LBB0_4:                                ;   in Loop: Header=BB0_2 Depth=1
	s_wait_alu 0xfffe
	s_and_not1_saveexec_b32 s2, s22
	s_cbranch_execz .LBB0_6
; %bb.5:                                ;   in Loop: Header=BB0_2 Depth=1
	v_cvt_f32_u32_e32 v4, s20
	s_sub_co_i32 s22, 0, s20
	s_delay_alu instid0(VALU_DEP_1) | instskip(NEXT) | instid1(TRANS32_DEP_1)
	v_rcp_iflag_f32_e32 v4, v4
	v_mul_f32_e32 v4, 0x4f7ffffe, v4
	s_delay_alu instid0(VALU_DEP_1) | instskip(SKIP_1) | instid1(VALU_DEP_1)
	v_cvt_u32_f32_e32 v4, v4
	s_wait_alu 0xfffe
	v_mul_lo_u32 v7, s22, v4
	s_delay_alu instid0(VALU_DEP_1) | instskip(NEXT) | instid1(VALU_DEP_1)
	v_mul_hi_u32 v7, v4, v7
	v_add_nc_u32_e32 v4, v4, v7
	s_delay_alu instid0(VALU_DEP_1) | instskip(NEXT) | instid1(VALU_DEP_1)
	v_mul_hi_u32 v4, v5, v4
	v_mul_lo_u32 v7, v4, s20
	v_add_nc_u32_e32 v8, 1, v4
	s_delay_alu instid0(VALU_DEP_2) | instskip(NEXT) | instid1(VALU_DEP_1)
	v_sub_nc_u32_e32 v7, v5, v7
	v_subrev_nc_u32_e32 v9, s20, v7
	v_cmp_le_u32_e32 vcc_lo, s20, v7
	s_wait_alu 0xfffd
	s_delay_alu instid0(VALU_DEP_2) | instskip(NEXT) | instid1(VALU_DEP_1)
	v_dual_cndmask_b32 v7, v7, v9 :: v_dual_cndmask_b32 v4, v4, v8
	v_cmp_le_u32_e32 vcc_lo, s20, v7
	s_delay_alu instid0(VALU_DEP_2) | instskip(SKIP_1) | instid1(VALU_DEP_1)
	v_add_nc_u32_e32 v8, 1, v4
	s_wait_alu 0xfffd
	v_dual_cndmask_b32 v7, v4, v8 :: v_dual_mov_b32 v8, v3
.LBB0_6:                                ;   in Loop: Header=BB0_2 Depth=1
	s_wait_alu 0xfffe
	s_or_b32 exec_lo, exec_lo, s2
	s_load_b64 s[22:23], s[14:15], 0x0
	s_delay_alu instid0(VALU_DEP_1)
	v_mul_lo_u32 v4, v8, s20
	v_mul_lo_u32 v11, v7, s21
	v_mad_co_u64_u32 v[9:10], null, v7, s20, 0
	s_add_nc_u64 s[16:17], s[16:17], 1
	s_add_nc_u64 s[14:15], s[14:15], 8
	s_wait_alu 0xfffe
	v_cmp_ge_u64_e64 s2, s[16:17], s[6:7]
	s_add_nc_u64 s[18:19], s[18:19], 8
	s_delay_alu instid0(VALU_DEP_2) | instskip(NEXT) | instid1(VALU_DEP_3)
	v_add3_u32 v4, v10, v11, v4
	v_sub_co_u32 v5, vcc_lo, v5, v9
	s_wait_alu 0xfffd
	s_delay_alu instid0(VALU_DEP_2) | instskip(SKIP_3) | instid1(VALU_DEP_2)
	v_sub_co_ci_u32_e32 v4, vcc_lo, v6, v4, vcc_lo
	s_and_b32 vcc_lo, exec_lo, s2
	s_wait_kmcnt 0x0
	v_mul_lo_u32 v6, s23, v5
	v_mul_lo_u32 v4, s22, v4
	v_mad_co_u64_u32 v[1:2], null, s22, v5, v[1:2]
	s_delay_alu instid0(VALU_DEP_1)
	v_add3_u32 v2, v6, v2, v4
	s_wait_alu 0xfffe
	s_cbranch_vccnz .LBB0_9
; %bb.7:                                ;   in Loop: Header=BB0_2 Depth=1
	v_dual_mov_b32 v5, v7 :: v_dual_mov_b32 v6, v8
	s_branch .LBB0_2
.LBB0_8:
	v_dual_mov_b32 v8, v6 :: v_dual_mov_b32 v7, v5
.LBB0_9:
	s_lshl_b64 s[2:3], s[6:7], 3
	v_mul_hi_u32 v3, 0x2d82d83, v0
	s_wait_alu 0xfffe
	s_add_nc_u64 s[2:3], s[12:13], s[2:3]
                                        ; implicit-def: $vgpr95
	s_load_b64 s[2:3], s[2:3], 0x0
	s_load_b64 s[0:1], s[0:1], 0x20
	s_delay_alu instid0(VALU_DEP_1) | instskip(NEXT) | instid1(VALU_DEP_1)
	v_mul_u32_u24_e32 v3, 0x5a, v3
	v_sub_nc_u32_e32 v94, v0, v3
	s_delay_alu instid0(VALU_DEP_1)
	v_add_nc_u32_e32 v88, 0x5a, v94
	s_wait_kmcnt 0x0
	v_mul_lo_u32 v4, s2, v8
	v_mul_lo_u32 v5, s3, v7
	v_mad_co_u64_u32 v[1:2], null, s2, v7, v[1:2]
	v_cmp_gt_u64_e32 vcc_lo, s[0:1], v[7:8]
	v_cmp_le_u64_e64 s0, s[0:1], v[7:8]
	s_delay_alu instid0(VALU_DEP_3) | instskip(NEXT) | instid1(VALU_DEP_2)
	v_add3_u32 v2, v5, v2, v4
	s_and_saveexec_b32 s1, s0
	s_wait_alu 0xfffe
	s_xor_b32 s0, exec_lo, s1
; %bb.10:
	v_add_nc_u32_e32 v95, 0x5a, v94
; %bb.11:
	s_wait_alu 0xfffe
	s_or_saveexec_b32 s1, s0
	v_lshlrev_b64_e32 v[0:1], 3, v[1:2]
	v_add_nc_u32_e32 v93, 0x1c2, v94
	v_add_nc_u32_e32 v92, 0x384, v94
	;; [unrolled: 1-line block ×8, first 2 shown]
                                        ; implicit-def: $vgpr67
                                        ; implicit-def: $vgpr56
                                        ; implicit-def: $vgpr65
                                        ; implicit-def: $vgpr52
                                        ; implicit-def: $vgpr70
                                        ; implicit-def: $vgpr50
                                        ; implicit-def: $vgpr54
                                        ; implicit-def: $vgpr46
                                        ; implicit-def: $vgpr25
                                        ; implicit-def: $vgpr23
                                        ; implicit-def: $vgpr30
                                        ; implicit-def: $vgpr40
                                        ; implicit-def: $vgpr32
                                        ; implicit-def: $vgpr38
                                        ; implicit-def: $vgpr36
                                        ; implicit-def: $vgpr44
                                        ; implicit-def: $vgpr48
                                        ; implicit-def: $vgpr42
                                        ; implicit-def: $vgpr9
                                        ; implicit-def: $vgpr5
                                        ; implicit-def: $vgpr27
                                        ; implicit-def: $vgpr34
                                        ; implicit-def: $vgpr15
                                        ; implicit-def: $vgpr19
                                        ; implicit-def: $vgpr17
                                        ; implicit-def: $vgpr21
                                        ; implicit-def: $vgpr13
                                        ; implicit-def: $vgpr11
                                        ; implicit-def: $vgpr7
                                        ; implicit-def: $vgpr3
	s_wait_alu 0xfffe
	s_xor_b32 exec_lo, exec_lo, s1
	s_cbranch_execz .LBB0_15
; %bb.12:
	v_mad_co_u64_u32 v[2:3], null, s8, v94, 0
	v_mad_co_u64_u32 v[4:5], null, s8, v93, 0
	v_add_nc_u32_e32 v11, 0xe1, v94
	v_add_nc_u32_e32 v15, 0x2a3, v94
	v_add_co_u32 v28, s0, s10, v0
	s_wait_alu 0xf1ff
	v_add_co_ci_u32_e64 v50, s0, s11, v1, s0
	v_mad_co_u64_u32 v[6:7], null, s8, v11, 0
	v_mad_co_u64_u32 v[8:9], null, s9, v94, v[3:4]
	;; [unrolled: 1-line block ×4, first 2 shown]
	s_delay_alu instid0(VALU_DEP_4) | instskip(NEXT) | instid1(VALU_DEP_4)
	v_mad_co_u64_u32 v[13:14], null, s9, v93, v[5:6]
	v_mov_b32_e32 v3, v8
	v_mad_co_u64_u32 v[7:8], null, s9, v11, v[7:8]
	v_mad_co_u64_u32 v[11:12], null, s8, v92, 0
	v_dual_mov_b32 v5, v10 :: v_dual_add_nc_u32 v24, 0x627, v94
	v_mad_co_u64_u32 v[35:36], null, s8, v89, 0
	s_delay_alu instid0(VALU_DEP_4) | instskip(NEXT) | instid1(VALU_DEP_4)
	v_lshlrev_b64_e32 v[6:7], 3, v[6:7]
	v_dual_mov_b32 v8, v12 :: v_dual_add_nc_u32 v29, 0x7e9, v94
	v_mad_co_u64_u32 v[37:38], null, s8, v87, 0
	v_add_nc_u32_e32 v33, 0x13b, v94
	s_delay_alu instid0(VALU_DEP_4)
	v_mad_co_u64_u32 v[14:15], null, s9, v15, v[5:6]
	v_mov_b32_e32 v5, v13
	v_mad_co_u64_u32 v[12:13], null, s9, v92, v[8:9]
	v_add_nc_u32_e32 v13, 0x465, v94
	v_mad_co_u64_u32 v[26:27], null, s8, v29, 0
	v_mov_b32_e32 v10, v14
	v_lshlrev_b64_e32 v[4:5], 3, v[4:5]
	s_delay_alu instid0(VALU_DEP_4) | instskip(SKIP_1) | instid1(VALU_DEP_4)
	v_mad_co_u64_u32 v[14:15], null, s8, v13, 0
	v_lshlrev_b64_e32 v[18:19], 3, v[11:12]
	v_lshlrev_b64_e32 v[8:9], 3, v[9:10]
	v_mov_b32_e32 v11, v17
	v_mad_co_u64_u32 v[31:32], null, s8, v33, 0
	v_mad_co_u64_u32 v[39:40], null, s8, v86, 0
	v_mov_b32_e32 v10, v15
	v_lshlrev_b64_e32 v[2:3], 3, v[2:3]
	v_add_nc_u32_e32 v43, 0x681, v94
	v_mad_co_u64_u32 v[41:42], null, s8, v85, 0
	s_delay_alu instid0(VALU_DEP_4) | instskip(NEXT) | instid1(VALU_DEP_4)
	v_mad_co_u64_u32 v[20:21], null, s9, v13, v[10:11]
	v_add_co_u32 v2, s0, v28, v2
	s_wait_alu 0xf1ff
	v_add_co_ci_u32_e64 v3, s0, v50, v3, s0
	v_add_co_u32 v6, s0, v28, v6
	s_wait_alu 0xf1ff
	v_add_co_ci_u32_e64 v7, s0, v50, v7, s0
	;; [unrolled: 3-line block ×4, first 2 shown]
	v_mad_co_u64_u32 v[21:22], null, s9, v90, v[11:12]
	s_clause 0x3
	global_load_b64 v[2:3], v[2:3], off
	global_load_b64 v[6:7], v[6:7], off
	;; [unrolled: 1-line block ×4, first 2 shown]
	v_mad_co_u64_u32 v[22:23], null, s8, v24, 0
	v_mov_b32_e32 v15, v20
	v_add_co_u32 v4, s0, v28, v18
	v_mov_b32_e32 v17, v21
	s_wait_alu 0xf1ff
	v_add_co_ci_u32_e64 v5, s0, v50, v19, s0
	v_mov_b32_e32 v8, v23
	v_lshlrev_b64_e32 v[14:15], 3, v[14:15]
	v_lshlrev_b64_e32 v[16:17], 3, v[16:17]
	s_mov_b32 s2, exec_lo
                                        ; implicit-def: $vgpr53
                                        ; implicit-def: $vgpr49
                                        ; implicit-def: $vgpr69
                                        ; implicit-def: $vgpr51
                                        ; implicit-def: $vgpr64
                                        ; implicit-def: $vgpr55
                                        ; implicit-def: $vgpr66
	v_add_nc_u32_e32 v46, 0x843, v94
	v_mad_co_u64_u32 v[8:9], null, s9, v24, v[8:9]
	v_mad_co_u64_u32 v[24:25], null, s8, v91, 0
	v_add_co_u32 v14, s0, v28, v14
	s_wait_alu 0xf1ff
	v_add_co_ci_u32_e64 v15, s0, v50, v15, s0
	s_delay_alu instid0(VALU_DEP_4) | instskip(NEXT) | instid1(VALU_DEP_4)
	v_mov_b32_e32 v23, v8
	v_dual_mov_b32 v9, v27 :: v_dual_mov_b32 v8, v25
	v_add_co_u32 v18, s0, v28, v16
	s_wait_alu 0xf1ff
	v_add_co_ci_u32_e64 v19, s0, v50, v17, s0
	v_lshlrev_b64_e32 v[16:17], 3, v[22:23]
	v_mad_co_u64_u32 v[20:21], null, s9, v91, v[8:9]
	s_delay_alu instid0(VALU_DEP_2) | instskip(SKIP_1) | instid1(VALU_DEP_3)
	v_add_co_u32 v22, s0, v28, v16
	s_wait_alu 0xf1ff
	v_add_co_ci_u32_e64 v23, s0, v50, v17, s0
	s_delay_alu instid0(VALU_DEP_3)
	v_mov_b32_e32 v25, v20
	s_clause 0x3
	global_load_b64 v[20:21], v[4:5], off
	global_load_b64 v[16:17], v[14:15], off
	;; [unrolled: 1-line block ×4, first 2 shown]
	v_mov_b32_e32 v5, v32
	s_wait_loadcnt 0x5
	v_mad_co_u64_u32 v[8:9], null, s9, v29, v[9:10]
	v_mad_co_u64_u32 v[29:30], null, s8, v88, 0
	s_delay_alu instid0(VALU_DEP_2) | instskip(SKIP_1) | instid1(VALU_DEP_3)
	v_mov_b32_e32 v27, v8
	v_lshlrev_b64_e32 v[8:9], 3, v[24:25]
	v_mov_b32_e32 v4, v30
	s_delay_alu instid0(VALU_DEP_3) | instskip(SKIP_1) | instid1(VALU_DEP_3)
	v_lshlrev_b64_e32 v[22:23], 3, v[26:27]
	v_add_nc_u32_e32 v27, 0x2fd, v94
	v_mad_co_u64_u32 v[24:25], null, s9, v88, v[4:5]
	v_mad_co_u64_u32 v[4:5], null, s9, v33, v[5:6]
	v_add_co_u32 v8, s0, v28, v8
	s_wait_alu 0xf1ff
	v_add_co_ci_u32_e64 v9, s0, v50, v9, s0
	s_delay_alu instid0(VALU_DEP_4) | instskip(NEXT) | instid1(VALU_DEP_4)
	v_mov_b32_e32 v30, v24
	v_mov_b32_e32 v32, v4
	v_add_co_u32 v4, s0, v28, v22
	s_wait_alu 0xf1ff
	v_add_co_ci_u32_e64 v5, s0, v50, v23, s0
	v_lshlrev_b64_e32 v[23:24], 3, v[29:30]
	v_mov_b32_e32 v22, v36
	v_lshlrev_b64_e32 v[25:26], 3, v[31:32]
	s_delay_alu instid0(VALU_DEP_2)
	v_mad_co_u64_u32 v[29:30], null, s9, v89, v[22:23]
	v_mad_co_u64_u32 v[30:31], null, s8, v27, 0
	v_add_co_u32 v22, s0, v28, v23
	s_wait_alu 0xf1ff
	v_add_co_ci_u32_e64 v23, s0, v50, v24, s0
	v_add_co_u32 v24, s0, v28, v25
	s_wait_alu 0xf1ff
	v_add_co_ci_u32_e64 v25, s0, v50, v26, s0
	v_mov_b32_e32 v26, v31
	v_mov_b32_e32 v36, v29
	s_delay_alu instid0(VALU_DEP_2)
	v_mad_co_u64_u32 v[31:32], null, s9, v27, v[26:27]
	s_clause 0x3
	global_load_b64 v[33:34], v[8:9], off
	global_load_b64 v[26:27], v[4:5], off
	;; [unrolled: 1-line block ×4, first 2 shown]
	v_add_nc_u32_e32 v32, 0x4bf, v94
	v_lshlrev_b64_e32 v[22:23], 3, v[35:36]
	v_mov_b32_e32 v24, v38
	s_delay_alu instid0(VALU_DEP_3) | instskip(NEXT) | instid1(VALU_DEP_2)
	v_mad_co_u64_u32 v[35:36], null, s8, v32, 0
	v_mad_co_u64_u32 v[24:25], null, s9, v87, v[24:25]
	v_lshlrev_b64_e32 v[29:30], 3, v[30:31]
	v_add_co_u32 v22, s0, v28, v22
	s_wait_alu 0xf1ff
	v_add_co_ci_u32_e64 v23, s0, v50, v23, s0
	s_delay_alu instid0(VALU_DEP_4) | instskip(NEXT) | instid1(VALU_DEP_4)
	v_dual_mov_b32 v25, v36 :: v_dual_mov_b32 v38, v24
	v_add_co_u32 v29, s0, v28, v29
	s_wait_alu 0xf1ff
	v_add_co_ci_u32_e64 v30, s0, v50, v30, s0
	s_delay_alu instid0(VALU_DEP_3) | instskip(NEXT) | instid1(VALU_DEP_1)
	v_lshlrev_b64_e32 v[37:38], 3, v[37:38]
	v_add_co_u32 v37, s0, v28, v37
	s_wait_alu 0xf1ff
	s_delay_alu instid0(VALU_DEP_2) | instskip(SKIP_3) | instid1(VALU_DEP_2)
	v_add_co_ci_u32_e64 v38, s0, v50, v38, s0
	s_wait_loadcnt 0x2
	v_mad_co_u64_u32 v[24:25], null, s9, v32, v[25:26]
	v_mad_co_u64_u32 v[31:32], null, s8, v43, 0
	v_dual_mov_b32 v25, v40 :: v_dual_mov_b32 v36, v24
	s_delay_alu instid0(VALU_DEP_1) | instskip(NEXT) | instid1(VALU_DEP_3)
	v_mad_co_u64_u32 v[24:25], null, s9, v86, v[25:26]
	v_mov_b32_e32 v25, v32
	s_delay_alu instid0(VALU_DEP_3) | instskip(NEXT) | instid1(VALU_DEP_2)
	v_lshlrev_b64_e32 v[35:36], 3, v[35:36]
	v_mad_co_u64_u32 v[43:44], null, s9, v43, v[25:26]
	v_mad_co_u64_u32 v[44:45], null, s8, v46, 0
	v_dual_mov_b32 v25, v42 :: v_dual_mov_b32 v40, v24
	s_delay_alu instid0(VALU_DEP_4) | instskip(NEXT) | instid1(VALU_DEP_4)
	v_add_co_u32 v35, s0, v28, v35
	v_mov_b32_e32 v32, v43
	s_delay_alu instid0(VALU_DEP_3)
	v_mad_co_u64_u32 v[24:25], null, s9, v85, v[25:26]
	v_mov_b32_e32 v25, v45
	v_lshlrev_b64_e32 v[39:40], 3, v[39:40]
	s_wait_alu 0xf1ff
	v_add_co_ci_u32_e64 v36, s0, v50, v36, s0
	v_lshlrev_b64_e32 v[31:32], 3, v[31:32]
	v_mad_co_u64_u32 v[45:46], null, s9, v46, v[25:26]
	v_mov_b32_e32 v42, v24
	v_add_co_u32 v24, s0, v28, v39
	s_wait_alu 0xf1ff
	v_add_co_ci_u32_e64 v25, s0, v50, v40, s0
	s_delay_alu instid0(VALU_DEP_3) | instskip(SKIP_4) | instid1(VALU_DEP_4)
	v_lshlrev_b64_e32 v[39:40], 3, v[41:42]
	v_add_co_u32 v31, s0, v28, v31
	v_lshlrev_b64_e32 v[41:42], 3, v[44:45]
	s_wait_alu 0xf1ff
	v_add_co_ci_u32_e64 v32, s0, v50, v32, s0
	v_add_co_u32 v39, s0, v28, v39
	s_wait_alu 0xf1ff
	v_add_co_ci_u32_e64 v40, s0, v50, v40, s0
	v_add_co_u32 v45, s0, v28, v41
	s_wait_alu 0xf1ff
	v_add_co_ci_u32_e64 v46, s0, v50, v42, s0
	s_clause 0x7
	global_load_b64 v[41:42], v[22:23], off
	global_load_b64 v[47:48], v[29:30], off
	;; [unrolled: 1-line block ×8, first 2 shown]
                                        ; implicit-def: $vgpr22
                                        ; implicit-def: $vgpr24
                                        ; implicit-def: $vgpr45
	v_cmpx_gt_u32_e32 45, v94
	s_cbranch_execz .LBB0_14
; %bb.13:
	v_add_nc_u32_e32 v57, 0x357, v94
	v_add_nc_u32_e32 v55, 0x195, v94
	;; [unrolled: 1-line block ×5, first 2 shown]
	v_mad_co_u64_u32 v[51:52], null, s8, v57, 0
	v_add_nc_u32_e32 v49, 0xb4, v94
	v_mad_co_u64_u32 v[24:25], null, s8, v55, 0
	v_mad_co_u64_u32 v[45:46], null, s8, v56, 0
	s_delay_alu instid0(VALU_DEP_3) | instskip(SKIP_2) | instid1(VALU_DEP_3)
	v_mad_co_u64_u32 v[22:23], null, s8, v49, 0
	v_mad_co_u64_u32 v[60:61], null, s8, v65, 0
	v_add_nc_u32_e32 v70, 0x89d, v94
	v_mad_co_u64_u32 v[53:54], null, s9, v49, v[23:24]
	v_dual_mov_b32 v23, v46 :: v_dual_mov_b32 v46, v52
	v_mad_co_u64_u32 v[54:55], null, s9, v55, v[25:26]
	s_delay_alu instid0(VALU_DEP_2) | instskip(NEXT) | instid1(VALU_DEP_4)
	v_mad_co_u64_u32 v[55:56], null, s9, v56, v[23:24]
	v_mov_b32_e32 v23, v53
	s_wait_loadcnt 0x6
	v_mad_co_u64_u32 v[52:53], null, s9, v57, v[46:47]
	v_add_nc_u32_e32 v53, 0x438, v94
	v_mov_b32_e32 v25, v54
	v_lshlrev_b64_e32 v[22:23], 3, v[22:23]
	v_dual_mov_b32 v46, v55 :: v_dual_add_nc_u32 v55, 0x519, v94
	s_delay_alu instid0(VALU_DEP_4) | instskip(SKIP_1) | instid1(VALU_DEP_4)
	v_mad_co_u64_u32 v[56:57], null, s8, v53, 0
	v_lshlrev_b64_e32 v[51:52], 3, v[51:52]
	v_add_co_u32 v22, s0, v28, v22
	s_delay_alu instid0(VALU_DEP_4) | instskip(SKIP_4) | instid1(VALU_DEP_2)
	v_mad_co_u64_u32 v[58:59], null, s8, v55, 0
	v_lshlrev_b64_e32 v[45:46], 3, v[45:46]
	v_mov_b32_e32 v49, v57
	s_wait_alu 0xf1ff
	v_add_co_ci_u32_e64 v23, s0, v50, v23, s0
	v_mad_co_u64_u32 v[53:54], null, s9, v53, v[49:50]
	v_mov_b32_e32 v49, v59
	s_delay_alu instid0(VALU_DEP_1) | instskip(SKIP_1) | instid1(VALU_DEP_4)
	v_mad_co_u64_u32 v[62:63], null, s9, v55, v[49:50]
	v_mad_co_u64_u32 v[63:64], null, s8, v66, 0
	v_mov_b32_e32 v57, v53
	v_mov_b32_e32 v49, v61
	s_delay_alu instid0(VALU_DEP_4) | instskip(SKIP_1) | instid1(VALU_DEP_1)
	v_dual_mov_b32 v59, v62 :: v_dual_add_nc_u32 v62, 0x7bc, v94
	v_lshlrev_b64_e32 v[24:25], 3, v[24:25]
	v_add_co_u32 v24, s0, v28, v24
	s_wait_alu 0xf1ff
	s_delay_alu instid0(VALU_DEP_2)
	v_add_co_ci_u32_e64 v25, s0, v50, v25, s0
	v_add_co_u32 v45, s0, v28, v45
	s_wait_alu 0xf1ff
	v_add_co_ci_u32_e64 v46, s0, v50, v46, s0
	v_add_co_u32 v51, s0, v28, v51
	s_wait_alu 0xf1ff
	v_add_co_ci_u32_e64 v52, s0, v50, v52, s0
	s_clause 0x3
	global_load_b64 v[22:23], v[22:23], off
	global_load_b64 v[24:25], v[24:25], off
	;; [unrolled: 1-line block ×4, first 2 shown]
	v_lshlrev_b64_e32 v[51:52], 3, v[56:57]
	v_mad_co_u64_u32 v[55:56], null, s9, v65, v[49:50]
	v_mov_b32_e32 v49, v64
	v_mad_co_u64_u32 v[56:57], null, s8, v62, 0
	s_delay_alu instid0(VALU_DEP_4) | instskip(NEXT) | instid1(VALU_DEP_3)
	v_add_co_u32 v51, s0, v28, v51
	v_mad_co_u64_u32 v[64:65], null, s9, v66, v[49:50]
	v_mad_co_u64_u32 v[65:66], null, s8, v70, 0
	s_delay_alu instid0(VALU_DEP_4)
	v_mov_b32_e32 v49, v57
	v_lshlrev_b64_e32 v[57:58], 3, v[58:59]
	v_mov_b32_e32 v61, v55
	s_wait_alu 0xf1ff
	v_add_co_ci_u32_e64 v52, s0, v50, v52, s0
	v_mad_co_u64_u32 v[67:68], null, s9, v62, v[49:50]
	v_mov_b32_e32 v49, v66
	v_add_co_u32 v68, s0, v28, v57
	s_wait_alu 0xf1ff
	v_add_co_ci_u32_e64 v69, s0, v50, v58, s0
	v_lshlrev_b64_e32 v[58:59], 3, v[60:61]
	v_mad_co_u64_u32 v[60:61], null, s9, v70, v[49:50]
	v_lshlrev_b64_e32 v[61:62], 3, v[63:64]
	v_mov_b32_e32 v57, v67
	s_delay_alu instid0(VALU_DEP_4)
	v_add_co_u32 v58, s0, v28, v58
	s_wait_alu 0xf1ff
	v_add_co_ci_u32_e64 v59, s0, v50, v59, s0
	v_mov_b32_e32 v66, v60
	v_lshlrev_b64_e32 v[55:56], 3, v[56:57]
	v_add_co_u32 v60, s0, v28, v61
	s_wait_alu 0xf1ff
	v_add_co_ci_u32_e64 v61, s0, v50, v62, s0
	v_lshlrev_b64_e32 v[62:63], 3, v[65:66]
	s_delay_alu instid0(VALU_DEP_4) | instskip(SKIP_2) | instid1(VALU_DEP_3)
	v_add_co_u32 v55, s0, v28, v55
	s_wait_alu 0xf1ff
	v_add_co_ci_u32_e64 v56, s0, v50, v56, s0
	v_add_co_u32 v62, s0, v28, v62
	s_wait_alu 0xf1ff
	v_add_co_ci_u32_e64 v63, s0, v50, v63, s0
	s_clause 0x5
	global_load_b64 v[49:50], v[51:52], off
	global_load_b64 v[69:70], v[68:69], off
	;; [unrolled: 1-line block ×6, first 2 shown]
.LBB0_14:
	s_wait_alu 0xfffe
	s_or_b32 exec_lo, exec_lo, s2
	v_mov_b32_e32 v95, v88
.LBB0_15:
	s_or_b32 exec_lo, exec_lo, s1
	v_dual_add_f32 v28, v18, v20 :: v_dual_sub_f32 v59, v21, v19
	v_dual_sub_f32 v60, v10, v20 :: v_dual_sub_f32 v61, v33, v18
	v_add_f32_e32 v57, v10, v2
	s_delay_alu instid0(VALU_DEP_3)
	v_fma_f32 v28, -0.5, v28, v2
	s_wait_loadcnt 0x1
	v_sub_f32_e32 v76, v42, v40
	s_wait_loadcnt 0x0
	v_sub_f32_e32 v82, v29, v31
	v_add_f32_e32 v60, v61, v60
	v_dual_sub_f32 v58, v11, v34 :: v_dual_add_f32 v57, v20, v57
	v_add_f32_e32 v62, v33, v10
	v_sub_f32_e32 v84, v32, v30
	s_delay_alu instid0(VALU_DEP_3) | instskip(NEXT) | instid1(VALU_DEP_4)
	v_dual_sub_f32 v80, v36, v32 :: v_dual_fmamk_f32 v63, v58, 0xbf737871, v28
	v_dual_fmac_f32 v28, 0x3f737871, v58 :: v_dual_add_f32 v57, v18, v57
	s_delay_alu instid0(VALU_DEP_4) | instskip(NEXT) | instid1(VALU_DEP_3)
	v_dual_fmac_f32 v2, -0.5, v62 :: v_dual_add_f32 v61, v14, v16
	v_fmac_f32_e32 v63, 0xbf167918, v59
	s_delay_alu instid0(VALU_DEP_3) | instskip(NEXT) | instid1(VALU_DEP_3)
	v_dual_fmac_f32 v28, 0x3f167918, v59 :: v_dual_add_f32 v71, v12, v6
	v_fmamk_f32 v68, v59, 0x3f737871, v2
	s_delay_alu instid0(VALU_DEP_3) | instskip(NEXT) | instid1(VALU_DEP_3)
	v_dual_add_f32 v62, v33, v57 :: v_dual_fmac_f32 v63, 0x3e9e377a, v60
	v_dual_fmac_f32 v28, 0x3e9e377a, v60 :: v_dual_sub_f32 v57, v20, v10
	v_sub_f32_e32 v60, v18, v33
	v_fma_f32 v96, -0.5, v61, v6
	v_sub_f32_e32 v61, v13, v27
	v_fmac_f32_e32 v2, 0xbf737871, v59
	v_dual_add_f32 v59, v16, v71 :: v_dual_sub_f32 v72, v26, v14
	v_dual_fmac_f32 v68, 0xbf167918, v58 :: v_dual_add_f32 v57, v60, v57
	s_delay_alu instid0(VALU_DEP_4) | instskip(SKIP_4) | instid1(VALU_DEP_4)
	v_fmamk_f32 v97, v61, 0xbf737871, v96
	v_dual_sub_f32 v60, v17, v15 :: v_dual_sub_f32 v71, v12, v16
	v_fmac_f32_e32 v2, 0x3f167918, v58
	v_add_f32_e32 v58, v14, v59
	v_add_f32_e32 v59, v26, v12
	v_fmac_f32_e32 v97, 0xbf167918, v60
	s_delay_alu instid0(VALU_DEP_4) | instskip(NEXT) | instid1(VALU_DEP_4)
	v_dual_add_f32 v71, v72, v71 :: v_dual_fmac_f32 v2, 0x3e9e377a, v57
	v_add_f32_e32 v72, v26, v58
	s_delay_alu instid0(VALU_DEP_4) | instskip(NEXT) | instid1(VALU_DEP_3)
	v_fmac_f32_e32 v6, -0.5, v59
	v_dual_fmac_f32 v68, 0x3e9e377a, v57 :: v_dual_fmac_f32 v97, 0x3e9e377a, v71
	v_add_f32_e32 v57, v15, v17
	v_sub_f32_e32 v59, v14, v26
	s_delay_alu instid0(VALU_DEP_4) | instskip(SKIP_4) | instid1(VALU_DEP_4)
	v_fmamk_f32 v99, v60, 0x3f737871, v6
	v_sub_f32_e32 v58, v16, v12
	v_fmac_f32_e32 v96, 0x3f737871, v61
	v_fma_f32 v98, -0.5, v57, v7
	v_dual_fmac_f32 v6, 0xbf737871, v60 :: v_dual_sub_f32 v73, v15, v27
	v_add_f32_e32 v57, v59, v58
	v_add_f32_e32 v58, v27, v13
	v_dual_fmac_f32 v96, 0x3f167918, v60 :: v_dual_sub_f32 v59, v16, v14
	v_dual_fmac_f32 v99, 0xbf167918, v61 :: v_dual_sub_f32 v26, v12, v26
	s_delay_alu instid0(VALU_DEP_3) | instskip(NEXT) | instid1(VALU_DEP_3)
	v_fma_f32 v14, -0.5, v58, v7
	v_fmac_f32_e32 v96, 0x3e9e377a, v71
	v_sub_f32_e32 v58, v13, v17
	s_delay_alu instid0(VALU_DEP_4)
	v_fmac_f32_e32 v99, 0x3e9e377a, v57
	v_dual_fmamk_f32 v12, v26, 0x3f737871, v98 :: v_dual_sub_f32 v71, v17, v13
	v_sub_f32_e32 v60, v27, v15
	v_fmamk_f32 v16, v59, 0xbf737871, v14
	v_fmac_f32_e32 v6, 0x3f167918, v61
	v_fmac_f32_e32 v98, 0xbf737871, v26
	v_fmac_f32_e32 v14, 0x3f737871, v59
	v_dual_add_f32 v58, v60, v58 :: v_dual_sub_f32 v77, v39, v37
	s_delay_alu instid0(VALU_DEP_4)
	v_dual_fmac_f32 v6, 0x3e9e377a, v57 :: v_dual_add_f32 v57, v72, v62
	v_add_f32_e32 v60, v73, v71
	v_dual_add_f32 v71, v37, v43 :: v_dual_fmac_f32 v16, 0x3f167918, v26
	v_fmac_f32_e32 v98, 0xbf167918, v59
	v_fmac_f32_e32 v14, 0xbf167918, v26
	v_sub_f32_e32 v62, v62, v72
	s_delay_alu instid0(VALU_DEP_4) | instskip(SKIP_4) | instid1(VALU_DEP_4)
	v_fma_f32 v79, -0.5, v71, v4
	v_dual_fmac_f32 v16, 0x3e9e377a, v60 :: v_dual_sub_f32 v81, v47, v35
	v_cmp_gt_u32_e64 s1, 45, v94
	v_sub_f32_e32 v83, v36, v48
	v_add_f32_e32 v78, v41, v4
	v_mul_f32_e32 v73, 0xbf737871, v16
	s_delay_alu instid0(VALU_DEP_1) | instskip(SKIP_1) | instid1(VALU_DEP_2)
	v_fmac_f32_e32 v73, 0x3e9e377a, v99
	v_fmac_f32_e32 v12, 0x3f167918, v59
	v_dual_fmac_f32 v98, 0x3e9e377a, v58 :: v_dual_add_f32 v59, v68, v73
	s_delay_alu instid0(VALU_DEP_2) | instskip(NEXT) | instid1(VALU_DEP_1)
	v_fmac_f32_e32 v12, 0x3e9e377a, v58
	v_dual_mul_f32 v75, 0xbf167918, v98 :: v_dual_mul_f32 v26, 0xbf167918, v12
	s_delay_alu instid0(VALU_DEP_1) | instskip(SKIP_1) | instid1(VALU_DEP_2)
	v_fmac_f32_e32 v75, 0xbf4f1bbd, v96
	v_fmac_f32_e32 v14, 0x3e9e377a, v60
	v_dual_fmac_f32 v26, 0x3f4f1bbd, v97 :: v_dual_add_f32 v61, v28, v75
	s_delay_alu instid0(VALU_DEP_2) | instskip(NEXT) | instid1(VALU_DEP_2)
	v_mul_f32_e32 v74, 0xbf737871, v14
	v_add_f32_e32 v58, v63, v26
	v_sub_f32_e32 v71, v63, v26
	s_delay_alu instid0(VALU_DEP_3)
	v_fmac_f32_e32 v74, 0xbe9e377a, v6
	v_sub_f32_e32 v26, v44, v38
	v_sub_f32_e32 v72, v68, v73
	v_fmamk_f32 v68, v76, 0xbf737871, v79
	v_fmac_f32_e32 v79, 0x3f737871, v76
	v_sub_f32_e32 v73, v2, v74
	s_delay_alu instid0(VALU_DEP_3) | instskip(NEXT) | instid1(VALU_DEP_3)
	v_dual_sub_f32 v63, v41, v43 :: v_dual_fmac_f32 v68, 0xbf167918, v26
	v_fmac_f32_e32 v79, 0x3f167918, v26
	v_add_f32_e32 v60, v2, v74
	v_add_f32_e32 v2, v39, v41
	v_sub_f32_e32 v74, v28, v75
	v_add_f32_e32 v28, v77, v63
	v_sub_f32_e32 v63, v37, v39
	s_delay_alu instid0(VALU_DEP_4) | instskip(SKIP_1) | instid1(VALU_DEP_4)
	v_dual_add_f32 v77, v31, v35 :: v_dual_fmac_f32 v4, -0.5, v2
	v_sub_f32_e32 v2, v43, v41
	v_fmac_f32_e32 v68, 0x3e9e377a, v28
	v_fmac_f32_e32 v79, 0x3e9e377a, v28
	s_delay_alu instid0(VALU_DEP_4)
	v_dual_add_f32 v28, v47, v8 :: v_dual_fmamk_f32 v75, v26, 0x3f737871, v4
	v_fmac_f32_e32 v4, 0xbf737871, v26
	v_add_f32_e32 v63, v63, v2
	v_fma_f32 v2, -0.5, v77, v8
	v_sub_f32_e32 v77, v48, v30
	v_fmac_f32_e32 v75, 0xbf167918, v76
	v_fmac_f32_e32 v4, 0x3f167918, v76
	v_add_f32_e32 v76, v29, v47
	s_delay_alu instid0(VALU_DEP_4) | instskip(NEXT) | instid1(VALU_DEP_4)
	v_fmamk_f32 v26, v77, 0xbf737871, v2
	v_fmac_f32_e32 v75, 0x3e9e377a, v63
	v_fmac_f32_e32 v2, 0x3f737871, v77
	s_delay_alu instid0(VALU_DEP_4) | instskip(SKIP_2) | instid1(VALU_DEP_4)
	v_fmac_f32_e32 v8, -0.5, v76
	v_fmac_f32_e32 v4, 0x3e9e377a, v63
	v_dual_fmac_f32 v26, 0xbf167918, v80 :: v_dual_add_f32 v63, v82, v81
	v_fmac_f32_e32 v2, 0x3f167918, v80
	s_delay_alu instid0(VALU_DEP_4)
	v_fmamk_f32 v100, v80, 0x3f737871, v8
	v_fmac_f32_e32 v8, 0xbf737871, v80
	v_mul_u32_u24_e32 v80, 10, v94
	v_sub_f32_e32 v76, v35, v47
	v_dual_sub_f32 v81, v31, v29 :: v_dual_fmac_f32 v26, 0x3e9e377a, v63
	v_fmac_f32_e32 v2, 0x3e9e377a, v63
	s_delay_alu instid0(VALU_DEP_4) | instskip(SKIP_1) | instid1(VALU_DEP_4)
	v_lshl_add_u32 v102, v80, 2, 0
	v_add_f32_e32 v80, v30, v48
	v_dual_fmac_f32 v100, 0xbf167918, v77 :: v_dual_add_f32 v63, v81, v76
	v_fmac_f32_e32 v8, 0x3f167918, v77
	v_dual_add_f32 v76, v32, v36 :: v_dual_sub_f32 v77, v35, v31
	s_delay_alu instid0(VALU_DEP_4) | instskip(SKIP_2) | instid1(VALU_DEP_4)
	v_fma_f32 v104, -0.5, v80, v9
	v_sub_f32_e32 v81, v48, v36
	v_sub_f32_e32 v82, v30, v32
	v_fma_f32 v103, -0.5, v76, v9
	s_delay_alu instid0(VALU_DEP_4)
	v_dual_sub_f32 v76, v47, v29 :: v_dual_fmamk_f32 v47, v77, 0xbf737871, v104
	ds_store_2addr_b64 v102, v[57:58], v[59:60] offset1:1
	ds_store_2addr_b64 v102, v[61:62], v[71:72] offset0:2 offset1:3
	v_dual_add_f32 v80, v82, v81 :: v_dual_add_f32 v81, v84, v83
	v_fmamk_f32 v108, v76, 0x3f737871, v103
	v_dual_fmac_f32 v47, 0x3f167918, v76 :: v_dual_sub_f32 v60, v70, v65
	v_dual_add_f32 v78, v43, v78 :: v_dual_sub_f32 v61, v53, v69
	s_delay_alu instid0(VALU_DEP_3) | instskip(NEXT) | instid1(VALU_DEP_3)
	v_fmac_f32_e32 v108, 0x3f167918, v77
	v_dual_fmac_f32 v47, 0x3e9e377a, v81 :: v_dual_add_f32 v28, v35, v28
	s_delay_alu instid0(VALU_DEP_3) | instskip(SKIP_1) | instid1(VALU_DEP_4)
	v_add_f32_e32 v35, v37, v78
	v_mul_i32_i24_e32 v59, 10, v95
	v_fmac_f32_e32 v108, 0x3e9e377a, v80
	v_fmac_f32_e32 v8, 0x3e9e377a, v63
	v_add_f32_e32 v28, v31, v28
	v_add_f32_e32 v31, v39, v35
	v_lshl_add_u32 v101, v59, 2, 0
	v_sub_f32_e32 v59, v55, v51
	v_fmac_f32_e32 v100, 0x3e9e377a, v63
	v_add_f32_e32 v28, v29, v28
	v_mul_f32_e32 v29, 0xbf167918, v108
	v_fmac_f32_e32 v104, 0x3f737871, v77
	v_fmac_f32_e32 v103, 0xbf737871, v76
	s_delay_alu instid0(VALU_DEP_4) | instskip(NEXT) | instid1(VALU_DEP_4)
	v_dual_mul_f32 v35, 0xbf737871, v47 :: v_dual_sub_f32 v78, v31, v28
	v_fmac_f32_e32 v29, 0x3f4f1bbd, v26
	s_delay_alu instid0(VALU_DEP_3) | instskip(NEXT) | instid1(VALU_DEP_2)
	v_dual_fmac_f32 v104, 0xbf167918, v76 :: v_dual_fmac_f32 v103, 0xbf167918, v77
	v_add_f32_e32 v63, v68, v29
	v_sub_f32_e32 v71, v68, v29
	v_add_f32_e32 v29, v51, v49
	s_delay_alu instid0(VALU_DEP_4) | instskip(NEXT) | instid1(VALU_DEP_2)
	v_dual_fmac_f32 v103, 0x3e9e377a, v80 :: v_dual_sub_f32 v68, v64, v66
	v_fma_f32 v57, -0.5, v29, v22
	s_delay_alu instid0(VALU_DEP_2) | instskip(NEXT) | instid1(VALU_DEP_1)
	v_dual_add_f32 v29, v64, v69 :: v_dual_mul_f32 v58, 0xbf167918, v103
	v_fma_f32 v107, -0.5, v29, v24
	s_delay_alu instid0(VALU_DEP_2) | instskip(NEXT) | instid1(VALU_DEP_1)
	v_dual_sub_f32 v29, v54, v67 :: v_dual_fmac_f32 v58, 0xbf4f1bbd, v2
	v_fmamk_f32 v109, v29, 0xbf737871, v107
	v_dual_fmac_f32 v107, 0x3f737871, v29 :: v_dual_add_f32 v62, v28, v31
	s_delay_alu instid0(VALU_DEP_3) | instskip(NEXT) | instid1(VALU_DEP_2)
	v_dual_sub_f32 v28, v45, v49 :: v_dual_add_f32 v77, v79, v58
	v_dual_sub_f32 v80, v79, v58 :: v_dual_fmac_f32 v107, 0x3f167918, v60
	v_fmac_f32_e32 v104, 0x3e9e377a, v81
	v_fmac_f32_e32 v109, 0xbf167918, v60
	v_sub_f32_e32 v58, v50, v52
	s_delay_alu instid0(VALU_DEP_3) | instskip(NEXT) | instid1(VALU_DEP_1)
	v_mul_f32_e32 v81, 0xbf737871, v104
	v_fmac_f32_e32 v81, 0xbe9e377a, v8
	s_delay_alu instid0(VALU_DEP_1) | instskip(SKIP_2) | instid1(VALU_DEP_1)
	v_add_f32_e32 v76, v4, v81
	v_dual_sub_f32 v79, v4, v81 :: v_dual_add_f32 v4, v59, v28
	v_dual_add_f32 v28, v66, v53 :: v_dual_add_f32 v59, v53, v24
	v_dual_add_f32 v81, v65, v70 :: v_dual_fmac_f32 v24, -0.5, v28
	s_delay_alu instid0(VALU_DEP_2) | instskip(NEXT) | instid1(VALU_DEP_2)
	v_dual_sub_f32 v28, v66, v64 :: v_dual_add_f32 v59, v69, v59
	v_fma_f32 v110, -0.5, v81, v25
	s_delay_alu instid0(VALU_DEP_2) | instskip(NEXT) | instid1(VALU_DEP_3)
	v_add_f32_e32 v59, v64, v59
	v_add_f32_e32 v28, v28, v61
	v_sub_f32_e32 v61, v69, v53
	v_sub_f32_e32 v53, v53, v66
	s_delay_alu instid0(VALU_DEP_4) | instskip(NEXT) | instid1(VALU_DEP_4)
	v_add_f32_e32 v59, v66, v59
	v_fmac_f32_e32 v109, 0x3e9e377a, v28
	v_fmac_f32_e32 v35, 0x3e9e377a, v100
	s_delay_alu instid0(VALU_DEP_4) | instskip(SKIP_2) | instid1(VALU_DEP_4)
	v_fmamk_f32 v111, v53, 0x3f737871, v110
	v_fmac_f32_e32 v107, 0x3e9e377a, v28
	v_fmac_f32_e32 v110, 0xbf737871, v53
	v_sub_f32_e32 v72, v75, v35
	v_add_f32_e32 v75, v75, v35
	v_sub_f32_e32 v35, v46, v56
	s_delay_alu instid0(VALU_DEP_1) | instskip(SKIP_1) | instid1(VALU_DEP_2)
	v_fmamk_f32 v31, v35, 0xbf737871, v57
	v_fmac_f32_e32 v57, 0x3f737871, v35
	v_fmac_f32_e32 v31, 0xbf167918, v58
	s_delay_alu instid0(VALU_DEP_2) | instskip(NEXT) | instid1(VALU_DEP_2)
	v_fmac_f32_e32 v57, 0x3f167918, v58
	v_fmac_f32_e32 v31, 0x3e9e377a, v4
	s_delay_alu instid0(VALU_DEP_2) | instskip(SKIP_4) | instid1(VALU_DEP_4)
	v_fmac_f32_e32 v57, 0x3e9e377a, v4
	v_fmamk_f32 v4, v60, 0x3f737871, v24
	v_fmac_f32_e32 v24, 0xbf737871, v60
	v_add_f32_e32 v60, v68, v61
	v_dual_sub_f32 v61, v67, v65 :: v_dual_sub_f32 v68, v69, v64
	v_fmac_f32_e32 v4, 0xbf167918, v29
	s_delay_alu instid0(VALU_DEP_4) | instskip(NEXT) | instid1(VALU_DEP_3)
	v_dual_fmac_f32 v24, 0x3f167918, v29 :: v_dual_sub_f32 v29, v54, v70
	v_fmac_f32_e32 v111, 0x3f167918, v68
	v_fmac_f32_e32 v110, 0xbf167918, v68
	s_delay_alu instid0(VALU_DEP_4) | instskip(NEXT) | instid1(VALU_DEP_4)
	v_fmac_f32_e32 v4, 0x3e9e377a, v60
	v_dual_add_f32 v28, v61, v29 :: v_dual_add_f32 v29, v67, v54
	v_fmac_f32_e32 v24, 0x3e9e377a, v60
	s_delay_alu instid0(VALU_DEP_2) | instskip(NEXT) | instid1(VALU_DEP_3)
	v_dual_sub_f32 v60, v65, v67 :: v_dual_fmac_f32 v111, 0x3e9e377a, v28
	v_fma_f32 v105, -0.5, v29, v25
	v_dual_add_f32 v29, v45, v22 :: v_dual_fmac_f32 v110, 0x3e9e377a, v28
	v_sub_f32_e32 v28, v70, v54
	s_delay_alu instid0(VALU_DEP_2) | instskip(SKIP_1) | instid1(VALU_DEP_3)
	v_dual_fmamk_f32 v106, v68, 0xbf737871, v105 :: v_dual_add_f32 v29, v49, v29
	v_fmac_f32_e32 v105, 0x3f737871, v68
	v_dual_add_f32 v28, v60, v28 :: v_dual_mul_f32 v61, 0xbf167918, v110
	s_delay_alu instid0(VALU_DEP_3) | instskip(NEXT) | instid1(VALU_DEP_4)
	v_dual_mul_f32 v60, 0xbf167918, v111 :: v_dual_add_f32 v29, v51, v29
	v_fmac_f32_e32 v106, 0x3f167918, v53
	s_delay_alu instid0(VALU_DEP_4) | instskip(NEXT) | instid1(VALU_DEP_4)
	v_fmac_f32_e32 v105, 0xbf167918, v53
	v_fmac_f32_e32 v61, 0xbf4f1bbd, v107
	s_delay_alu instid0(VALU_DEP_4) | instskip(NEXT) | instid1(VALU_DEP_4)
	v_fmac_f32_e32 v60, 0x3f4f1bbd, v109
	v_dual_add_f32 v53, v55, v29 :: v_dual_fmac_f32 v106, 0x3e9e377a, v28
	s_delay_alu instid0(VALU_DEP_3) | instskip(NEXT) | instid1(VALU_DEP_2)
	v_dual_fmac_f32 v105, 0x3e9e377a, v28 :: v_dual_add_f32 v28, v57, v61
	v_dual_sub_f32 v68, v31, v60 :: v_dual_sub_f32 v29, v53, v59
	ds_store_b64 v102, v[73:74] offset:32
	ds_store_2addr_b64 v101, v[62:63], v[75:76] offset1:1
	ds_store_2addr_b64 v101, v[77:78], v[71:72] offset0:2 offset1:3
	ds_store_b64 v101, v[79:80] offset:32
	s_and_saveexec_b32 s0, s1
	s_cbranch_execz .LBB0_17
; %bb.16:
	v_add_f32_e32 v62, v55, v45
	v_dual_add_f32 v60, v31, v60 :: v_dual_add_nc_u32 v31, 0x1c20, v102
	v_sub_f32_e32 v63, v51, v55
	s_delay_alu instid0(VALU_DEP_3) | instskip(NEXT) | instid1(VALU_DEP_1)
	v_dual_add_f32 v59, v59, v53 :: v_dual_fmac_f32 v22, -0.5, v62
	v_fmamk_f32 v64, v58, 0xbf737871, v22
	v_fmac_f32_e32 v22, 0x3f737871, v58
	v_sub_f32_e32 v58, v57, v61
	v_mul_f32_e32 v57, 0xbf737871, v105
	v_dual_sub_f32 v62, v49, v45 :: v_dual_mul_f32 v61, 0xbf737871, v106
	s_delay_alu instid0(VALU_DEP_2) | instskip(SKIP_1) | instid1(VALU_DEP_3)
	v_fmac_f32_e32 v57, 0xbe9e377a, v24
	v_fmac_f32_e32 v22, 0xbf167918, v35
	v_dual_fmac_f32 v61, 0x3e9e377a, v4 :: v_dual_add_f32 v62, v63, v62
	s_delay_alu instid0(VALU_DEP_1) | instskip(NEXT) | instid1(VALU_DEP_1)
	v_fmac_f32_e32 v22, 0x3e9e377a, v62
	v_dual_fmac_f32 v64, 0x3f167918, v35 :: v_dual_sub_f32 v69, v22, v61
	s_delay_alu instid0(VALU_DEP_1) | instskip(NEXT) | instid1(VALU_DEP_1)
	v_dual_add_f32 v61, v22, v61 :: v_dual_fmac_f32 v64, 0x3e9e377a, v62
	v_dual_add_f32 v62, v64, v57 :: v_dual_add_nc_u32 v35, 0x1c30, v102
	v_sub_f32_e32 v57, v64, v57
	ds_store_2addr_b64 v35, v[28:29], v[68:69] offset1:1
	ds_store_2addr_b64 v31, v[59:60], v[61:62] offset1:1
	ds_store_b64 v102, v[57:58] offset:7232
.LBB0_17:
	s_wait_alu 0xfffe
	s_or_b32 exec_lo, exec_lo, s0
	v_mad_i32_i24 v53, 0xffffffdc, v94, v102
	global_wb scope:SCOPE_SE
	s_wait_dscnt 0x0
	s_barrier_signal -1
	s_barrier_wait -1
	global_inv scope:SCOPE_SE
	v_add_nc_u32_e32 v22, 0x800, v53
	v_add_nc_u32_e32 v31, 0x1400, v53
	;; [unrolled: 1-line block ×4, first 2 shown]
	ds_load_2addr_b32 v[59:60], v53 offset1:180
	ds_load_2addr_b32 v[57:58], v22 offset0:118 offset1:238
	v_add_nc_u32_e32 v22, 0x400, v53
	ds_load_2addr_b32 v[71:72], v31 offset0:100 offset1:220
	ds_load_2addr_b32 v[83:84], v35 offset0:72 offset1:162
	;; [unrolled: 1-line block ×4, first 2 shown]
	v_add_nc_u32_e32 v22, 0xe00, v53
	v_add_nc_u32_e32 v35, 0x1a00, v53
	;; [unrolled: 1-line block ×4, first 2 shown]
	v_mad_i32_i24 v31, 0xffffffdc, v95, v101
	v_add_nc_u32_e32 v69, 0x1c00, v53
	ds_load_2addr_b32 v[79:80], v22 offset0:124 offset1:214
	ds_load_2addr_b32 v[77:78], v35 offset0:106 offset1:196
	;; [unrolled: 1-line block ×5, first 2 shown]
	ds_load_b32 v31, v31
	ds_load_b32 v35, v53 offset:8520
	v_cmp_gt_u32_e64 s0, 30, v94
	s_delay_alu instid0(VALU_DEP_1)
	s_and_saveexec_b32 s2, s0
	s_cbranch_execz .LBB0_19
; %bb.18:
	ds_load_b32 v28, v53 offset:2880
	ds_load_b32 v29, v53 offset:5880
	ds_load_b32 v68, v53 offset:8880
.LBB0_19:
	s_wait_alu 0xfffe
	s_or_b32 exec_lo, exec_lo, s2
	v_dual_add_f32 v22, v11, v3 :: v_dual_sub_f32 v33, v10, v33
	v_dual_add_f32 v66, v19, v21 :: v_dual_add_f32 v69, v34, v11
	global_wb scope:SCOPE_SE
	s_wait_dscnt 0x0
	v_add_f32_e32 v10, v21, v22
	v_sub_f32_e32 v22, v34, v19
	v_fma_f32 v66, -0.5, v66, v3
	v_dual_sub_f32 v18, v20, v18 :: v_dual_fmac_f32 v3, -0.5, v69
	s_delay_alu instid0(VALU_DEP_4) | instskip(NEXT) | instid1(VALU_DEP_3)
	v_dual_add_f32 v112, v19, v10 :: v_dual_add_f32 v7, v13, v7
	v_dual_fmamk_f32 v113, v33, 0x3f737871, v66 :: v_dual_sub_f32 v20, v11, v21
	s_delay_alu instid0(VALU_DEP_3) | instskip(SKIP_1) | instid1(VALU_DEP_3)
	v_dual_fmac_f32 v66, 0xbf737871, v33 :: v_dual_fmamk_f32 v13, v18, 0xbf737871, v3
	v_sub_f32_e32 v11, v21, v11
	v_fmac_f32_e32 v113, 0x3f167918, v18
	s_delay_alu instid0(VALU_DEP_4) | instskip(SKIP_1) | instid1(VALU_DEP_2)
	v_dual_sub_f32 v19, v19, v34 :: v_dual_add_f32 v20, v22, v20
	v_dual_add_f32 v22, v34, v112 :: v_dual_add_f32 v7, v17, v7
	v_dual_fmac_f32 v66, 0xbf167918, v18 :: v_dual_add_f32 v11, v19, v11
	v_fmac_f32_e32 v3, 0x3f737871, v18
	v_mul_i32_i24_e32 v10, 0xffffffdc, v95
	s_delay_alu instid0(VALU_DEP_3)
	v_dual_add_f32 v7, v15, v7 :: v_dual_fmac_f32 v66, 0x3e9e377a, v20
	s_barrier_signal -1
	s_barrier_wait -1
	global_inv scope:SCOPE_SE
	v_add_f32_e32 v7, v27, v7
	v_mul_f32_e32 v27, 0x3f737871, v99
	s_delay_alu instid0(VALU_DEP_1) | instskip(SKIP_1) | instid1(VALU_DEP_1)
	v_fmac_f32_e32 v27, 0x3e9e377a, v16
	v_mul_f32_e32 v15, 0x3f167918, v97
	v_dual_fmac_f32 v15, 0x3f4f1bbd, v12 :: v_dual_mul_f32 v12, 0x3f4f1bbd, v98
	v_fmac_f32_e32 v3, 0xbf167918, v33
	v_dual_add_f32 v17, v7, v22 :: v_dual_sub_f32 v22, v22, v7
	s_delay_alu instid0(VALU_DEP_3) | instskip(NEXT) | instid1(VALU_DEP_3)
	v_fma_f32 v12, 0x3f167918, v96, -v12
	v_fmac_f32_e32 v3, 0x3e9e377a, v11
	v_fmac_f32_e32 v113, 0x3e9e377a, v20
	;; [unrolled: 1-line block ×3, first 2 shown]
	s_delay_alu instid0(VALU_DEP_2) | instskip(NEXT) | instid1(VALU_DEP_2)
	v_dual_sub_f32 v97, v66, v12 :: v_dual_add_f32 v18, v113, v15
	v_fmac_f32_e32 v13, 0x3e9e377a, v11
	v_dual_mul_f32 v11, 0x3e9e377a, v14 :: v_dual_add_f32 v14, v42, v5
	s_delay_alu instid0(VALU_DEP_1) | instskip(NEXT) | instid1(VALU_DEP_1)
	v_fma_f32 v6, 0x3f737871, v6, -v11
	v_add_f32_e32 v20, v3, v6
	v_sub_f32_e32 v96, v3, v6
	v_add_f32_e32 v6, v48, v9
	v_sub_f32_e32 v9, v44, v42
	s_delay_alu instid0(VALU_DEP_2) | instskip(SKIP_1) | instid1(VALU_DEP_2)
	v_dual_add_f32 v6, v36, v6 :: v_dual_sub_f32 v33, v113, v15
	v_sub_f32_e32 v15, v43, v37
	v_dual_add_f32 v11, v38, v44 :: v_dual_add_f32 v6, v32, v6
	v_add_f32_e32 v19, v13, v27
	v_sub_f32_e32 v34, v13, v27
	s_delay_alu instid0(VALU_DEP_3) | instskip(SKIP_3) | instid1(VALU_DEP_1)
	v_fma_f32 v16, -0.5, v11, v5
	v_sub_f32_e32 v11, v41, v39
	v_add_f32_e32 v21, v66, v12
	v_dual_sub_f32 v12, v38, v40 :: v_dual_sub_f32 v39, v40, v38
	v_dual_add_f32 v9, v12, v9 :: v_dual_mul_f32 v12, 0x3f737871, v100
	s_delay_alu instid0(VALU_DEP_1) | instskip(SKIP_2) | instid1(VALU_DEP_2)
	v_dual_sub_f32 v37, v42, v44 :: v_dual_fmac_f32 v12, 0x3e9e377a, v47
	v_add_f32_e32 v13, v40, v42
	v_add_nc_u32_e32 v47, 0xb4, v94
	v_fmac_f32_e32 v5, -0.5, v13
	v_mul_f32_e32 v13, 0x3f4f1bbd, v103
	s_delay_alu instid0(VALU_DEP_1) | instskip(SKIP_3) | instid1(VALU_DEP_1)
	v_fma_f32 v2, 0x3f167918, v2, -v13
	v_add_f32_e32 v27, v39, v37
	v_dual_add_f32 v7, v44, v14 :: v_dual_fmamk_f32 v14, v11, 0x3f737871, v16
	v_fmac_f32_e32 v16, 0xbf737871, v11
	v_fmac_f32_e32 v16, 0xbf167918, v15
	s_delay_alu instid0(VALU_DEP_1) | instskip(NEXT) | instid1(VALU_DEP_1)
	v_fmac_f32_e32 v16, 0x3e9e377a, v27
	v_dual_add_f32 v7, v38, v7 :: v_dual_add_f32 v38, v16, v2
	s_delay_alu instid0(VALU_DEP_1) | instskip(SKIP_3) | instid1(VALU_DEP_2)
	v_add_f32_e32 v3, v40, v7
	v_fmamk_f32 v7, v15, 0xbf737871, v5
	v_fmac_f32_e32 v5, 0x3f737871, v15
	v_sub_f32_e32 v43, v16, v2
	v_fmac_f32_e32 v5, 0xbf167918, v11
	s_delay_alu instid0(VALU_DEP_1) | instskip(SKIP_2) | instid1(VALU_DEP_2)
	v_fmac_f32_e32 v5, 0x3e9e377a, v9
	v_fmac_f32_e32 v7, 0x3f167918, v11
	v_mul_f32_e32 v11, 0x3f167918, v26
	v_fmac_f32_e32 v7, 0x3e9e377a, v9
	v_dual_add_f32 v9, v30, v6 :: v_dual_mul_f32 v6, 0x3e9e377a, v104
	s_delay_alu instid0(VALU_DEP_3) | instskip(NEXT) | instid1(VALU_DEP_3)
	v_fmac_f32_e32 v11, 0x3f4f1bbd, v108
	v_add_f32_e32 v36, v7, v12
	v_sub_f32_e32 v41, v7, v12
	s_delay_alu instid0(VALU_DEP_4)
	v_fma_f32 v30, 0x3f737871, v8, -v6
	v_add_f32_e32 v6, v46, v23
	v_sub_f32_e32 v12, v46, v50
	v_add_f32_e32 v26, v9, v3
	v_fmac_f32_e32 v14, 0x3f167918, v15
	v_add_f32_e32 v8, v52, v50
	v_add_f32_e32 v13, v50, v6
	v_sub_f32_e32 v39, v3, v9
	v_sub_f32_e32 v9, v49, v51
	v_fmac_f32_e32 v14, 0x3e9e377a, v27
	v_fma_f32 v6, -0.5, v8, v23
	v_dual_sub_f32 v8, v45, v55 :: v_dual_add_f32 v3, v52, v13
	v_sub_f32_e32 v13, v56, v52
	s_delay_alu instid0(VALU_DEP_4) | instskip(SKIP_1) | instid1(VALU_DEP_4)
	v_add_f32_e32 v27, v14, v11
	v_sub_f32_e32 v40, v14, v11
	v_dual_add_f32 v11, v54, v25 :: v_dual_add_f32 v14, v56, v3
	v_fmamk_f32 v7, v8, 0x3f737871, v6
	v_fmac_f32_e32 v6, 0xbf737871, v8
	s_delay_alu instid0(VALU_DEP_3) | instskip(SKIP_1) | instid1(VALU_DEP_4)
	v_dual_add_f32 v12, v13, v12 :: v_dual_add_f32 v3, v70, v11
	v_mul_f32_e32 v13, 0x3f4f1bbd, v110
	v_fmac_f32_e32 v7, 0x3f167918, v9
	s_delay_alu instid0(VALU_DEP_4)
	v_fmac_f32_e32 v6, 0xbf167918, v9
	v_mul_f32_e32 v11, 0x3f167918, v109
	v_add_f32_e32 v3, v65, v3
	v_fma_f32 v13, 0x3f167918, v107, -v13
	v_fmac_f32_e32 v7, 0x3e9e377a, v12
	v_fmac_f32_e32 v6, 0x3e9e377a, v12
	;; [unrolled: 1-line block ×3, first 2 shown]
	s_delay_alu instid0(VALU_DEP_2) | instskip(NEXT) | instid1(VALU_DEP_2)
	v_dual_add_f32 v15, v67, v3 :: v_dual_add_f32 v2, v6, v13
	v_sub_f32_e32 v12, v7, v11
	s_delay_alu instid0(VALU_DEP_2)
	v_sub_f32_e32 v3, v14, v15
	v_add_f32_e32 v37, v5, v30
	v_sub_f32_e32 v42, v5, v30
	ds_store_2addr_b64 v102, v[17:18], v[19:20] offset1:1
	ds_store_2addr_b64 v102, v[21:22], v[33:34] offset0:2 offset1:3
	ds_store_b64 v102, v[96:97] offset:32
	ds_store_2addr_b64 v101, v[26:27], v[36:37] offset1:1
	ds_store_2addr_b64 v101, v[38:39], v[40:41] offset0:2 offset1:3
	ds_store_b64 v101, v[42:43] offset:32
	s_and_saveexec_b32 s2, s1
	s_cbranch_execz .LBB0_21
; %bb.20:
	v_dual_add_f32 v5, v56, v46 :: v_dual_mul_f32 v4, 0x3f737871, v4
	s_delay_alu instid0(VALU_DEP_1) | instskip(SKIP_1) | instid1(VALU_DEP_3)
	v_dual_sub_f32 v16, v52, v56 :: v_dual_fmac_f32 v23, -0.5, v5
	v_add_f32_e32 v14, v15, v14
	v_dual_add_f32 v15, v7, v11 :: v_dual_fmac_f32 v4, 0x3e9e377a, v106
	v_sub_f32_e32 v5, v50, v46
	s_delay_alu instid0(VALU_DEP_4) | instskip(SKIP_2) | instid1(VALU_DEP_4)
	v_fmamk_f32 v17, v9, 0xbf737871, v23
	v_fmac_f32_e32 v23, 0x3f737871, v9
	v_mul_f32_e32 v9, 0x3e9e377a, v105
	v_add_f32_e32 v5, v16, v5
	s_delay_alu instid0(VALU_DEP_3) | instskip(NEXT) | instid1(VALU_DEP_3)
	v_fmac_f32_e32 v23, 0xbf167918, v8
	v_fma_f32 v9, 0x3f737871, v24, -v9
	s_delay_alu instid0(VALU_DEP_2) | instskip(SKIP_2) | instid1(VALU_DEP_3)
	v_fmac_f32_e32 v23, 0x3e9e377a, v5
	v_fmac_f32_e32 v17, 0x3f167918, v8
	v_mul_u32_u24_e32 v8, 10, v47
	v_add_f32_e32 v7, v23, v9
	s_delay_alu instid0(VALU_DEP_3) | instskip(SKIP_1) | instid1(VALU_DEP_4)
	v_fmac_f32_e32 v17, 0x3e9e377a, v5
	v_sub_f32_e32 v5, v6, v13
	v_lshl_add_u32 v8, v8, 2, 0
	s_delay_alu instid0(VALU_DEP_3)
	v_add_f32_e32 v6, v17, v4
	v_dual_sub_f32 v13, v17, v4 :: v_dual_sub_f32 v4, v23, v9
	ds_store_2addr_b64 v8, v[14:15], v[6:7] offset1:1
	ds_store_2addr_b64 v8, v[2:3], v[12:13] offset0:2 offset1:3
	ds_store_b64 v8, v[4:5] offset:32
.LBB0_21:
	s_wait_alu 0xfffe
	s_or_b32 exec_lo, exec_lo, s2
	v_add_nc_u32_e32 v4, 0x800, v53
	v_add_nc_u32_e32 v8, 0x1400, v53
	;; [unrolled: 1-line block ×7, first 2 shown]
	global_wb scope:SCOPE_SE
	s_wait_dscnt 0x0
	s_barrier_signal -1
	s_barrier_wait -1
	global_inv scope:SCOPE_SE
	ds_load_2addr_b32 v[6:7], v53 offset1:180
	ds_load_2addr_b32 v[4:5], v4 offset0:118 offset1:238
	ds_load_2addr_b32 v[13:14], v8 offset0:100 offset1:220
	;; [unrolled: 1-line block ×5, first 2 shown]
	v_add_nc_u32_e32 v11, 0x1a00, v53
	v_add_nc_u32_e32 v15, 0x600, v53
	;; [unrolled: 1-line block ×4, first 2 shown]
	ds_load_2addr_b32 v[21:22], v10 offset0:124 offset1:214
	ds_load_2addr_b32 v[19:20], v11 offset0:106 offset1:196
	;; [unrolled: 1-line block ×5, first 2 shown]
	ds_load_b32 v41, v49
	ds_load_b32 v27, v53 offset:8520
	s_and_saveexec_b32 s1, s0
	s_cbranch_execz .LBB0_23
; %bb.22:
	ds_load_b32 v2, v53 offset:2880
	ds_load_b32 v3, v53 offset:5880
	;; [unrolled: 1-line block ×3, first 2 shown]
.LBB0_23:
	s_wait_alu 0xfffe
	s_or_b32 exec_lo, exec_lo, s1
	v_and_b32_e32 v37, 0xff, v94
	s_delay_alu instid0(VALU_DEP_1) | instskip(NEXT) | instid1(VALU_DEP_1)
	v_mul_lo_u16 v30, 0xcd, v37
	v_lshrrev_b16 v30, 11, v30
	s_delay_alu instid0(VALU_DEP_1) | instskip(SKIP_1) | instid1(VALU_DEP_2)
	v_mul_lo_u16 v43, v30, 10
	v_and_b32_e32 v30, 0xffff, v30
	v_sub_nc_u16 v43, v94, v43
	s_delay_alu instid0(VALU_DEP_2) | instskip(NEXT) | instid1(VALU_DEP_2)
	v_mul_u32_u24_e32 v30, 0x78, v30
	v_and_b32_e32 v43, 0xff, v43
	s_delay_alu instid0(VALU_DEP_1) | instskip(SKIP_2) | instid1(VALU_DEP_1)
	v_lshlrev_b32_e32 v56, 4, v43
	global_load_b128 v[101:104], v56, s[4:5]
	v_and_b32_e32 v39, 0xff, v95
	v_mul_lo_u16 v33, 0xcd, v39
	s_delay_alu instid0(VALU_DEP_1) | instskip(NEXT) | instid1(VALU_DEP_1)
	v_lshrrev_b16 v33, 11, v33
	v_mul_lo_u16 v44, v33, 10
	s_delay_alu instid0(VALU_DEP_1) | instskip(NEXT) | instid1(VALU_DEP_1)
	v_sub_nc_u16 v44, v95, v44
	v_and_b32_e32 v44, 0xff, v44
	s_delay_alu instid0(VALU_DEP_1)
	v_lshlrev_b32_e32 v66, 4, v44
	global_load_b128 v[105:108], v66, s[4:5]
	v_and_b32_e32 v36, 0xffff, v47
	v_and_b32_e32 v34, 0xffff, v89
	v_add_nc_u32_e32 v48, 0x10e, v94
	v_add_nc_u32_e32 v46, 0x168, v94
	;; [unrolled: 1-line block ×3, first 2 shown]
	v_mul_u32_u24_e32 v42, 0xcccd, v36
	v_mul_u32_u24_e32 v34, 0xcccd, v34
	s_delay_alu instid0(VALU_DEP_4) | instskip(NEXT) | instid1(VALU_DEP_3)
	v_and_b32_e32 v38, 0xffff, v46
	v_lshrrev_b32_e32 v42, 19, v42
	s_delay_alu instid0(VALU_DEP_3) | instskip(NEXT) | instid1(VALU_DEP_3)
	v_lshrrev_b32_e32 v34, 19, v34
	v_mul_u32_u24_e32 v65, 0xcccd, v38
	s_delay_alu instid0(VALU_DEP_3) | instskip(NEXT) | instid1(VALU_DEP_3)
	v_mul_lo_u16 v52, v42, 10
	v_mul_lo_u16 v55, v34, 10
	v_mul_u32_u24_e32 v34, 0x78, v34
	s_delay_alu instid0(VALU_DEP_4) | instskip(SKIP_3) | instid1(VALU_DEP_4)
	v_lshrrev_b32_e32 v65, 19, v65
	v_mul_u32_u24_e32 v42, 0x78, v42
	v_sub_nc_u16 v52, v47, v52
	v_sub_nc_u16 v55, v89, v55
	v_mul_u32_u24_e32 v137, 0x78, v65
	s_delay_alu instid0(VALU_DEP_3) | instskip(NEXT) | instid1(VALU_DEP_3)
	v_and_b32_e32 v52, 0xffff, v52
	v_and_b32_e32 v55, 0xffff, v55
	s_delay_alu instid0(VALU_DEP_2)
	v_lshlrev_b32_e32 v56, 4, v52
	global_load_b128 v[109:112], v56, s[4:5]
	v_lshlrev_b32_e32 v67, 4, v55
	global_load_b128 v[113:116], v67, s[4:5]
	v_and_b32_e32 v40, 0xffff, v48
	v_mul_lo_u16 v56, v65, 10
	v_and_b32_e32 v67, 0xffff, v51
	v_lshlrev_b32_e32 v43, 2, v43
	v_and_b32_e32 v32, 0xffff, v93
	v_mul_u32_u24_e32 v54, 0xcccd, v40
	v_sub_nc_u16 v56, v46, v56
	v_mul_u32_u24_e32 v67, 0xcccd, v67
	v_and_b32_e32 v33, 0xffff, v33
	v_mul_u32_u24_e32 v32, 0xcccd, v32
	v_lshrrev_b32_e32 v54, 19, v54
	v_and_b32_e32 v56, 0xffff, v56
	v_lshrrev_b32_e32 v67, 19, v67
	s_delay_alu instid0(VALU_DEP_4) | instskip(NEXT) | instid1(VALU_DEP_4)
	v_lshrrev_b32_e32 v32, 19, v32
	v_mul_lo_u16 v66, v54, 10
	s_delay_alu instid0(VALU_DEP_4) | instskip(NEXT) | instid1(VALU_DEP_4)
	v_lshlrev_b32_e32 v97, 4, v56
	v_mul_lo_u16 v65, v67, 30
	v_mul_u32_u24_e32 v54, 0x78, v54
	v_mul_lo_u16 v69, v32, 10
	v_sub_nc_u16 v66, v48, v66
	v_mul_u32_u24_e32 v32, 0x78, v32
	global_load_b128 v[121:124], v97, s[4:5]
	v_sub_nc_u16 v69, v93, v69
	v_and_b32_e32 v66, 0xffff, v66
	s_delay_alu instid0(VALU_DEP_2) | instskip(NEXT) | instid1(VALU_DEP_2)
	v_and_b32_e32 v69, 0xffff, v69
	v_lshlrev_b32_e32 v70, 4, v66
	global_load_b128 v[117:120], v70, s[4:5]
	v_mul_lo_u16 v70, v67, 10
	v_add3_u32 v67, 0, v30, v43
	v_lshlrev_b32_e32 v30, 2, v66
	s_delay_alu instid0(VALU_DEP_1) | instskip(SKIP_3) | instid1(VALU_DEP_2)
	v_add3_u32 v100, 0, v54, v30
	s_wait_loadcnt_dscnt 0x50a
	v_dual_mul_f32 v43, v14, v104 :: v_dual_add_nc_u32 v50, 0x276, v94
	v_mul_f32_e32 v54, v72, v104
	v_fmac_f32_e32 v43, v72, v103
	s_delay_alu instid0(VALU_DEP_3) | instskip(NEXT) | instid1(VALU_DEP_1)
	v_and_b32_e32 v45, 0xffff, v50
	v_mul_u32_u24_e32 v45, 0xcccd, v45
	s_delay_alu instid0(VALU_DEP_1) | instskip(NEXT) | instid1(VALU_DEP_1)
	v_lshrrev_b32_e32 v45, 19, v45
	v_mul_lo_u16 v96, v45, 10
	v_mul_u32_u24_e32 v45, 0x78, v45
	s_delay_alu instid0(VALU_DEP_2) | instskip(NEXT) | instid1(VALU_DEP_1)
	v_sub_nc_u16 v96, v50, v96
	v_and_b32_e32 v99, 0xffff, v96
	s_wait_loadcnt 0x4
	v_mul_f32_e32 v104, v81, v108
	v_sub_nc_u16 v70, v51, v70
	s_wait_loadcnt_dscnt 0x203
	v_mul_f32_e32 v30, v18, v114
	v_lshlrev_b32_e32 v98, 4, v69
	v_lshlrev_b32_e32 v69, 2, v69
	s_delay_alu instid0(VALU_DEP_3) | instskip(SKIP_3) | instid1(VALU_DEP_2)
	v_fmac_f32_e32 v30, v76, v113
	global_load_b128 v[125:128], v98, s[4:5]
	v_and_b32_e32 v98, 0xffff, v70
	v_lshlrev_b32_e32 v70, 4, v99
	v_lshlrev_b32_e32 v96, 4, v98
	s_clause 0x1
	global_load_b128 v[129:132], v70, s[4:5]
	global_load_b128 v[133:136], v96, s[4:5]
	v_add3_u32 v70, 0, v32, v69
	v_lshlrev_b32_e32 v32, 2, v99
	v_lshlrev_b32_e32 v66, 2, v98
	global_wb scope:SCOPE_SE
	s_wait_loadcnt_dscnt 0x0
	s_barrier_signal -1
	s_barrier_wait -1
	v_add3_u32 v98, 0, v45, v32
	v_mul_f32_e32 v45, v23, v108
	v_mul_f32_e32 v32, v16, v116
	v_mul_u32_u24_e32 v33, 0x78, v33
	v_mul_f32_e32 v108, v82, v112
	global_inv scope:SCOPE_SE
	v_fmac_f32_e32 v45, v81, v107
	v_dual_mul_f32 v81, v21, v118 :: v_dual_lshlrev_b32 v44, 2, v44
	s_delay_alu instid0(VALU_DEP_1) | instskip(NEXT) | instid1(VALU_DEP_2)
	v_fmac_f32_e32 v81, v79, v117
	v_add3_u32 v97, 0, v33, v44
	v_dual_mul_f32 v44, v25, v106 :: v_dual_lshlrev_b32 v55, 2, v55
	v_lshlrev_b32_e32 v33, 2, v56
	v_fma_f32 v56, v14, v103, -v54
	s_delay_alu instid0(VALU_DEP_3) | instskip(NEXT) | instid1(VALU_DEP_4)
	v_dual_mul_f32 v103, v80, v122 :: v_dual_fmac_f32 v44, v83, v105
	v_add3_u32 v69, 0, v34, v55
	v_mul_f32_e32 v55, v83, v106
	v_fma_f32 v83, v24, v111, -v108
	v_lshlrev_b32_e32 v52, 2, v52
	v_mul_f32_e32 v106, v84, v110
	v_mul_f32_e32 v34, v24, v112
	;; [unrolled: 1-line block ×3, first 2 shown]
	s_delay_alu instid0(VALU_DEP_4) | instskip(SKIP_4) | instid1(VALU_DEP_4)
	v_add3_u32 v96, 0, v42, v52
	v_mul_f32_e32 v52, v58, v102
	v_mul_f32_e32 v42, v5, v102
	v_fmac_f32_e32 v34, v82, v111
	v_fma_f32 v16, v16, v115, -v112
	v_fma_f32 v102, v5, v101, -v52
	v_mul_f32_e32 v52, v79, v118
	v_add3_u32 v99, 0, v137, v33
	v_mul_f32_e32 v33, v26, v110
	v_mul_f32_e32 v110, v76, v114
	v_fmac_f32_e32 v42, v58, v101
	v_fma_f32 v101, v25, v105, -v55
	v_fma_f32 v58, v23, v107, -v104
	v_fmac_f32_e32 v33, v84, v109
	v_fma_f32 v55, v26, v109, -v106
	v_fma_f32 v76, v21, v117, -v52
	;; [unrolled: 1-line block ×3, first 2 shown]
	v_mul_f32_e32 v23, v22, v122
	v_fma_f32 v26, v18, v113, -v110
	s_delay_alu instid0(VALU_DEP_2) | instskip(NEXT) | instid1(VALU_DEP_1)
	v_fmac_f32_e32 v23, v80, v121
	v_dual_add_f32 v79, v62, v23 :: v_dual_mul_f32 v84, v19, v120
	v_mul_f32_e32 v105, v75, v126
	s_delay_alu instid0(VALU_DEP_1) | instskip(SKIP_4) | instid1(VALU_DEP_3)
	v_fma_f32 v22, v17, v125, -v105
	v_mul_f32_e32 v107, v71, v130
	v_dual_mul_f32 v14, v27, v132 :: v_dual_mul_f32 v109, v29, v134
	v_mul_f32_e32 v5, v13, v130
	v_dual_mul_f32 v18, v3, v134 :: v_dual_mul_f32 v25, v12, v136
	v_fmac_f32_e32 v14, v35, v131
	v_add_f32_e32 v52, v44, v45
	v_mul_f32_e32 v72, v17, v126
	v_fma_f32 v17, v13, v129, -v107
	v_fma_f32 v13, v3, v133, -v109
	v_dual_add_f32 v3, v59, v42 :: v_dual_mul_f32 v54, v77, v120
	v_fmac_f32_e32 v5, v71, v129
	v_mul_f32_e32 v108, v35, v132
	v_add_f32_e32 v35, v31, v44
	v_add_f32_e32 v71, v33, v34
	;; [unrolled: 1-line block ×3, first 2 shown]
	v_dual_fmac_f32 v31, -0.5, v52 :: v_dual_fmac_f32 v72, v75, v125
	v_fmac_f32_e32 v32, v74, v115
	v_fma_f32 v74, v19, v119, -v54
	v_mul_f32_e32 v82, v15, v128
	v_mul_f32_e32 v110, v68, v136
	v_dual_fmac_f32 v25, v68, v135 :: v_dual_sub_f32 v54, v101, v58
	v_add_f32_e32 v68, v60, v33
	v_mul_f32_e32 v104, v78, v124
	v_dual_fmac_f32 v60, -0.5, v71 :: v_dual_sub_f32 v71, v76, v74
	v_fmac_f32_e32 v82, v73, v127
	v_fmac_f32_e32 v18, v29, v133
	v_mul_f32_e32 v106, v73, v128
	v_dual_mul_f32 v24, v20, v124 :: v_dual_add_f32 v35, v35, v45
	v_fma_f32 v19, v20, v123, -v104
	v_add_f32_e32 v75, v64, v30
	v_dual_add_f32 v105, v72, v82 :: v_dual_fmac_f32 v84, v77, v119
	v_add_f32_e32 v77, v30, v32
	v_add_f32_e32 v109, v18, v25
	s_delay_alu instid0(VALU_DEP_4) | instskip(SKIP_1) | instid1(VALU_DEP_4)
	v_add_f32_e32 v75, v75, v32
	v_fma_f32 v20, v15, v127, -v106
	v_dual_sub_f32 v73, v55, v83 :: v_dual_fmac_f32 v64, -0.5, v77
	v_add_f32_e32 v77, v57, v5
	v_fma_f32 v15, v27, v131, -v108
	v_add_f32_e32 v27, v42, v43
	v_sub_f32_e32 v106, v22, v20
	v_dual_add_f32 v52, v61, v81 :: v_dual_sub_f32 v29, v102, v56
	v_fmamk_f32 v112, v73, 0xbf5db3d7, v60
	s_delay_alu instid0(VALU_DEP_4) | instskip(SKIP_1) | instid1(VALU_DEP_4)
	v_fma_f32 v27, -0.5, v27, v59
	v_fmac_f32_e32 v24, v78, v123
	v_dual_fmac_f32 v60, 0x3f5db3d7, v73 :: v_dual_add_f32 v73, v52, v84
	v_add_f32_e32 v107, v5, v14
	v_fma_f32 v12, v12, v135, -v110
	v_dual_add_f32 v59, v68, v34 :: v_dual_add_f32 v68, v81, v84
	v_fmamk_f32 v111, v29, 0xbf5db3d7, v27
	v_dual_fmac_f32 v27, 0x3f5db3d7, v29 :: v_dual_add_f32 v80, v23, v24
	s_delay_alu instid0(VALU_DEP_4)
	v_sub_f32_e32 v110, v13, v12
	v_fma_f32 v52, -0.5, v109, v28
	v_sub_f32_e32 v103, v21, v19
	v_sub_f32_e32 v108, v17, v15
	v_fma_f32 v61, -0.5, v68, v61
	v_fmac_f32_e32 v62, -0.5, v80
	v_dual_sub_f32 v78, v26, v16 :: v_dual_fmac_f32 v57, -0.5, v107
	v_dual_fmamk_f32 v29, v54, 0xbf5db3d7, v31 :: v_dual_add_f32 v104, v63, v72
	v_fmac_f32_e32 v31, 0x3f5db3d7, v54
	v_fma_f32 v63, -0.5, v105, v63
	v_fmamk_f32 v54, v110, 0xbf5db3d7, v52
	v_fmac_f32_e32 v52, 0x3f5db3d7, v110
	v_dual_add_f32 v68, v79, v24 :: v_dual_add_f32 v79, v104, v82
	v_dual_add_f32 v77, v77, v14 :: v_dual_fmamk_f32 v104, v108, 0xbf5db3d7, v57
	v_fmac_f32_e32 v57, 0x3f5db3d7, v108
	v_fmamk_f32 v80, v78, 0xbf5db3d7, v64
	v_fmac_f32_e32 v64, 0x3f5db3d7, v78
	v_fmamk_f32 v78, v71, 0xbf5db3d7, v61
	;; [unrolled: 2-line block ×4, first 2 shown]
	v_fmac_f32_e32 v63, 0x3f5db3d7, v106
	ds_store_2addr_b32 v67, v3, v111 offset1:10
	ds_store_b32 v67, v27 offset:80
	ds_store_2addr_b32 v97, v35, v29 offset1:10
	ds_store_b32 v97, v31 offset:80
	;; [unrolled: 2-line block ×8, first 2 shown]
	s_and_saveexec_b32 s1, s0
	s_cbranch_execz .LBB0_25
; %bb.24:
	v_and_b32_e32 v3, 0xffff, v65
	v_add_f32_e32 v27, v28, v18
	s_delay_alu instid0(VALU_DEP_2) | instskip(NEXT) | instid1(VALU_DEP_2)
	v_lshlrev_b32_e32 v3, 2, v3
	v_add_f32_e32 v27, v27, v25
	s_delay_alu instid0(VALU_DEP_2)
	v_add3_u32 v3, 0, v66, v3
	ds_store_2addr_b32 v3, v27, v54 offset1:10
	ds_store_b32 v3, v52 offset:80
.LBB0_25:
	s_wait_alu 0xfffe
	s_or_b32 exec_lo, exec_lo, s1
	v_add_f32_e32 v3, v102, v56
	v_dual_sub_f32 v28, v42, v43 :: v_dual_add_f32 v29, v101, v58
	v_dual_sub_f32 v5, v5, v14 :: v_dual_add_nc_u32 v60, 0x400, v53
	s_delay_alu instid0(VALU_DEP_3) | instskip(SKIP_3) | instid1(VALU_DEP_4)
	v_fma_f32 v63, -0.5, v3, v6
	v_dual_add_f32 v27, v6, v102 :: v_dual_sub_f32 v6, v44, v45
	v_add_nc_u32_e32 v43, 0xc00, v53
	v_add_nc_u32_e32 v45, 0x1400, v53
	v_dual_fmamk_f32 v68, v28, 0x3f5db3d7, v63 :: v_dual_add_f32 v3, v41, v101
	s_delay_alu instid0(VALU_DEP_4) | instskip(SKIP_2) | instid1(VALU_DEP_4)
	v_dual_add_f32 v64, v27, v56 :: v_dual_fmac_f32 v41, -0.5, v29
	v_add_f32_e32 v27, v7, v55
	v_add_nc_u32_e32 v59, 0xe00, v53
	v_add_f32_e32 v71, v3, v58
	v_add_nc_u32_e32 v61, 0x1000, v53
	v_fmamk_f32 v73, v6, 0x3f5db3d7, v41
	v_fmac_f32_e32 v41, 0xbf5db3d7, v6
	v_dual_add_f32 v6, v76, v74 :: v_dual_add_f32 v75, v27, v83
	v_add_f32_e32 v27, v8, v76
	v_add_nc_u32_e32 v57, 0x1c00, v53
	v_add_nc_u32_e32 v62, 0x2000, v53
	s_delay_alu instid0(VALU_DEP_4)
	v_fma_f32 v8, -0.5, v6, v8
	v_dual_sub_f32 v6, v81, v84 :: v_dual_add_f32 v3, v55, v83
	global_wb scope:SCOPE_SE
	s_wait_dscnt 0x0
	s_barrier_signal -1
	s_barrier_wait -1
	v_fmamk_f32 v77, v6, 0x3f5db3d7, v8
	v_dual_fmac_f32 v8, 0xbf5db3d7, v6 :: v_dual_fmac_f32 v7, -0.5, v3
	v_dual_sub_f32 v3, v33, v34 :: v_dual_add_f32 v6, v22, v20
	global_inv scope:SCOPE_SE
	v_add_nc_u32_e32 v42, 0x600, v53
	v_add_nc_u32_e32 v58, 0x1600, v53
	;; [unrolled: 1-line block ×3, first 2 shown]
	v_fma_f32 v79, -0.5, v6, v10
	v_sub_f32_e32 v6, v72, v82
	v_fmamk_f32 v76, v3, 0x3f5db3d7, v7
	v_fmac_f32_e32 v7, 0xbf5db3d7, v3
	v_add_f32_e32 v3, v21, v19
	v_dual_fmac_f32 v63, 0xbf5db3d7, v28 :: v_dual_add_f32 v74, v27, v74
	v_fmamk_f32 v81, v6, 0x3f5db3d7, v79
	v_dual_fmac_f32 v79, 0xbf5db3d7, v6 :: v_dual_add_f32 v6, v17, v15
	v_add_f32_e32 v21, v9, v21
	v_fmac_f32_e32 v9, -0.5, v3
	s_delay_alu instid0(VALU_DEP_2) | instskip(NEXT) | instid1(VALU_DEP_1)
	v_dual_sub_f32 v3, v23, v24 :: v_dual_add_f32 v78, v21, v19
	v_fmamk_f32 v72, v3, 0x3f5db3d7, v9
	v_fmac_f32_e32 v9, 0xbf5db3d7, v3
	v_add_f32_e32 v3, v11, v26
	s_delay_alu instid0(VALU_DEP_1) | instskip(SKIP_1) | instid1(VALU_DEP_1)
	v_add_f32_e32 v82, v3, v16
	v_add_f32_e32 v3, v13, v12
	v_fma_f32 v55, -0.5, v3, v2
	v_sub_f32_e32 v3, v18, v25
	v_add_f32_e32 v19, v10, v22
	v_add_f32_e32 v10, v26, v16
	;; [unrolled: 1-line block ×3, first 2 shown]
	v_fmac_f32_e32 v4, -0.5, v6
	v_fmamk_f32 v56, v3, 0x3f5db3d7, v55
	v_fmac_f32_e32 v55, 0xbf5db3d7, v3
	v_dual_fmac_f32 v11, -0.5, v10 :: v_dual_sub_f32 v10, v30, v32
	v_dual_add_f32 v80, v19, v20 :: v_dual_add_nc_u32 v3, 0x800, v53
	v_dual_add_f32 v84, v16, v15 :: v_dual_fmamk_f32 v101, v5, 0x3f5db3d7, v4
	s_delay_alu instid0(VALU_DEP_3)
	v_fmamk_f32 v83, v10, 0x3f5db3d7, v11
	v_dual_fmac_f32 v11, 0xbf5db3d7, v10 :: v_dual_fmac_f32 v4, 0xbf5db3d7, v5
	ds_load_2addr_b32 v[5:6], v53 offset1:180
	ds_load_2addr_b32 v[26:27], v42 offset0:66 offset1:156
	ds_load_2addr_b32 v[16:17], v43 offset0:42 offset1:132
	;; [unrolled: 1-line block ×4, first 2 shown]
	ds_load_b32 v10, v49
	ds_load_2addr_b32 v[28:29], v59 offset0:94 offset1:184
	ds_load_2addr_b32 v[22:23], v57 offset0:98 offset1:188
	;; [unrolled: 1-line block ×7, first 2 shown]
	global_wb scope:SCOPE_SE
	s_wait_dscnt 0x0
	s_barrier_signal -1
	s_barrier_wait -1
	global_inv scope:SCOPE_SE
	ds_store_2addr_b32 v67, v64, v68 offset1:10
	ds_store_b32 v67, v63 offset:80
	ds_store_2addr_b32 v97, v71, v73 offset1:10
	ds_store_b32 v97, v41 offset:80
	;; [unrolled: 2-line block ×8, first 2 shown]
	s_and_saveexec_b32 s1, s0
	s_cbranch_execz .LBB0_27
; %bb.26:
	v_and_b32_e32 v4, 0xffff, v65
	v_add_f32_e32 v2, v2, v13
	s_delay_alu instid0(VALU_DEP_2) | instskip(NEXT) | instid1(VALU_DEP_2)
	v_lshlrev_b32_e32 v4, 2, v4
	v_add_f32_e32 v2, v2, v12
	s_delay_alu instid0(VALU_DEP_2)
	v_add3_u32 v4, 0, v66, v4
	ds_store_2addr_b32 v4, v2, v56 offset1:10
	ds_store_b32 v4, v55 offset:80
.LBB0_27:
	s_wait_alu 0xfffe
	s_or_b32 exec_lo, exec_lo, s1
	v_mul_lo_u16 v2, 0x89, v37
	v_mul_lo_u16 v4, 0x89, v39
	v_mul_u32_u24_e32 v8, 0x8889, v36
	global_wb scope:SCOPE_SE
	s_wait_dscnt 0x0
	s_barrier_signal -1
	v_lshrrev_b16 v2, 12, v2
	v_lshrrev_b16 v4, 12, v4
	v_lshrrev_b32_e32 v11, 20, v8
	v_mul_u32_u24_e32 v8, 0x8889, v40
	s_barrier_wait -1
	v_mul_lo_u16 v7, v2, 30
	v_mul_lo_u16 v9, v4, 30
	;; [unrolled: 1-line block ×3, first 2 shown]
	v_lshrrev_b32_e32 v39, 20, v8
	global_inv scope:SCOPE_SE
	v_sub_nc_u16 v7, v94, v7
	v_sub_nc_u16 v9, v95, v9
	v_sub_nc_u16 v8, v47, v13
	v_mul_u32_u24_e32 v11, 0x258, v11
	s_delay_alu instid0(VALU_DEP_4) | instskip(NEXT) | instid1(VALU_DEP_1)
	v_and_b32_e32 v7, 0xff, v7
	v_lshlrev_b32_e32 v12, 5, v7
	s_clause 0x1
	global_load_b128 v[64:67], v12, s[4:5] offset:160
	global_load_b128 v[76:79], v12, s[4:5] offset:176
	v_and_b32_e32 v40, 0xff, v9
	v_mul_lo_u16 v9, v39, 30
	v_and_b32_e32 v41, 0xffff, v8
	v_mul_u32_u24_e32 v8, 0x8889, v38
	v_mul_u32_u24_e32 v39, 0x258, v39
	v_lshlrev_b32_e32 v13, 5, v40
	v_sub_nc_u16 v9, v48, v9
	v_lshlrev_b32_e32 v12, 5, v41
	v_lshrrev_b32_e32 v63, 20, v8
	global_load_b128 v[96:99], v13, s[4:5] offset:160
	v_and_b32_e32 v68, 0xffff, v9
	global_load_b128 v[107:110], v13, s[4:5] offset:176
	v_mul_lo_u16 v8, v63, 30
	global_load_b128 v[111:114], v12, s[4:5] offset:160
	v_and_b32_e32 v4, 0xffff, v4
	v_lshlrev_b32_e32 v9, 5, v68
	s_clause 0x1
	global_load_b128 v[115:118], v12, s[4:5] offset:176
	global_load_b128 v[119:122], v9, s[4:5] offset:160
	v_sub_nc_u16 v8, v46, v8
	global_load_b128 v[123:126], v9, s[4:5] offset:176
	v_mul_u32_u24_e32 v4, 0x258, v4
	v_and_b32_e32 v2, 0xffff, v2
	v_and_b32_e32 v69, 0xffff, v8
	s_delay_alu instid0(VALU_DEP_1)
	v_lshlrev_b32_e32 v8, 5, v69
	s_clause 0x1
	global_load_b128 v[127:130], v8, s[4:5] offset:160
	global_load_b128 v[131:134], v8, s[4:5] offset:176
	ds_load_2addr_b32 v[8:9], v53 offset1:180
	ds_load_2addr_b32 v[135:136], v42 offset0:66 offset1:156
	ds_load_2addr_b32 v[137:138], v43 offset0:42 offset1:132
	;; [unrolled: 1-line block ×4, first 2 shown]
	ds_load_b32 v36, v49
	ds_load_2addr_b32 v[143:144], v59 offset0:94 offset1:184
	ds_load_2addr_b32 v[145:146], v57 offset0:98 offset1:188
	;; [unrolled: 1-line block ×7, first 2 shown]
	v_mul_u32_u24_e32 v58, 0x258, v63
	v_add_nc_u32_e32 v38, 0x1800, v53
	v_add_nc_u32_e32 v37, 0x1200, v53
	global_wb scope:SCOPE_SE
	s_wait_loadcnt_dscnt 0x0
	s_barrier_signal -1
	s_barrier_wait -1
	global_inv scope:SCOPE_SE
	v_dual_mul_f32 v101, v138, v67 :: v_dual_lshlrev_b32 v40, 2, v40
	v_dual_mul_f32 v100, v135, v65 :: v_dual_lshlrev_b32 v7, 2, v7
	v_dual_mul_f32 v103, v142, v79 :: v_dual_mul_f32 v102, v139, v77
	s_delay_alu instid0(VALU_DEP_2) | instskip(NEXT) | instid1(VALU_DEP_2)
	v_dual_fmac_f32 v101, v17, v66 :: v_dual_fmac_f32 v100, v26, v64
	v_dual_fmac_f32 v103, v19, v78 :: v_dual_mul_f32 v82, v136, v97
	v_dual_mul_f32 v80, v143, v99 :: v_dual_mul_f32 v81, v140, v108
	v_mul_f32_e32 v84, v145, v110
	v_mul_f32_e32 v74, v147, v112
	;; [unrolled: 1-line block ×3, first 2 shown]
	s_delay_alu instid0(VALU_DEP_4)
	v_dual_fmac_f32 v80, v28, v98 :: v_dual_fmac_f32 v81, v33, v107
	v_mul_f32_e32 v75, v146, v118
	v_add3_u32 v62, 0, v4, v40
	v_dual_mul_f32 v4, v17, v67 :: v_dual_lshlrev_b32 v41, 2, v41
	v_mul_f32_e32 v73, v149, v116
	v_fmac_f32_e32 v102, v32, v76
	v_dual_mul_f32 v70, v150, v124 :: v_dual_mul_f32 v67, v151, v122
	s_delay_alu instid0(VALU_DEP_4)
	v_add3_u32 v41, 0, v11, v41
	v_mul_f32_e32 v11, v19, v79
	v_lshlrev_b32_e32 v61, 2, v68
	v_dual_mul_f32 v79, v34, v112 :: v_dual_lshlrev_b32 v68, 2, v69
	v_mul_u32_u24_e32 v2, 0x258, v2
	v_fma_f32 v105, v138, v66, -v4
	s_delay_alu instid0(VALU_DEP_4) | instskip(NEXT) | instid1(VALU_DEP_4)
	v_add3_u32 v40, 0, v39, v61
	v_add3_u32 v39, 0, v58, v68
	v_mul_f32_e32 v58, v27, v97
	v_add3_u32 v63, 0, v2, v7
	v_mul_f32_e32 v2, v26, v65
	v_mul_f32_e32 v7, v32, v77
	v_dual_mul_f32 v61, v28, v99 :: v_dual_mul_f32 v68, v33, v108
	v_mul_f32_e32 v77, v22, v110
	v_mul_f32_e32 v110, v30, v116
	v_dual_mul_f32 v4, v20, v126 :: v_dual_mul_f32 v65, v137, v128
	v_dual_mul_f32 v108, v29, v114 :: v_dual_mul_f32 v69, v148, v120
	v_dual_mul_f32 v114, v35, v120 :: v_dual_mul_f32 v71, v153, v126
	v_fma_f32 v104, v135, v64, -v2
	v_dual_mul_f32 v2, v31, v124 :: v_dual_mul_f32 v19, v21, v134
	v_dual_mul_f32 v32, v152, v130 :: v_dual_fmac_f32 v75, v23, v117
	v_dual_mul_f32 v64, v141, v132 :: v_dual_fmac_f32 v69, v35, v119
	;; [unrolled: 1-line block ×3, first 2 shown]
	v_mul_f32_e32 v112, v23, v118
	v_dual_mul_f32 v116, v24, v122 :: v_dual_mul_f32 v17, v18, v132
	v_fma_f32 v106, v139, v76, -v7
	v_fma_f32 v99, v142, v78, -v11
	v_mul_f32_e32 v7, v16, v128
	v_dual_mul_f32 v11, v25, v130 :: v_dual_fmac_f32 v82, v27, v96
	v_dual_fmac_f32 v67, v24, v121 :: v_dual_fmac_f32 v74, v34, v111
	v_fma_f32 v83, v136, v96, -v58
	v_fma_f32 v96, v143, v98, -v61
	;; [unrolled: 1-line block ×3, first 2 shown]
	v_dual_fmac_f32 v84, v22, v109 :: v_dual_fmac_f32 v65, v16, v127
	v_dual_fmac_f32 v72, v29, v113 :: v_dual_fmac_f32 v73, v30, v115
	v_fma_f32 v68, v153, v125, -v4
	s_delay_alu instid0(VALU_DEP_3)
	v_dual_add_f32 v4, v101, v102 :: v_dual_add_f32 v27, v82, v84
	v_fma_f32 v98, v145, v109, -v77
	v_fmac_f32_e32 v70, v31, v123
	v_fmac_f32_e32 v32, v25, v129
	;; [unrolled: 1-line block ×3, first 2 shown]
	v_fma_f32 v28, v154, v133, -v19
	v_sub_f32_e32 v23, v83, v98
	v_sub_f32_e32 v19, v101, v100
	v_dual_fmac_f32 v66, v21, v133 :: v_dual_sub_f32 v25, v82, v80
	v_fma_f32 v35, v150, v123, -v2
	v_fma_f32 v29, v137, v127, -v7
	;; [unrolled: 1-line block ×4, first 2 shown]
	v_sub_f32_e32 v7, v104, v99
	v_sub_f32_e32 v11, v105, v106
	v_dual_add_f32 v2, v5, v100 :: v_dual_add_f32 v107, v6, v74
	v_dual_sub_f32 v16, v100, v101 :: v_dual_sub_f32 v61, v81, v84
	v_dual_sub_f32 v17, v103, v102 :: v_dual_add_f32 v18, v100, v103
	v_add_f32_e32 v21, v10, v82
	v_sub_f32_e32 v20, v102, v103
	v_add_f32_e32 v22, v80, v81
	v_fma_f32 v76, v147, v111, -v79
	v_fma_f32 v77, v144, v113, -v108
	v_add_f32_e32 v113, v74, v75
	v_fma_f32 v78, v149, v115, -v110
	v_fma_f32 v79, v146, v117, -v112
	;; [unrolled: 1-line block ×4, first 2 shown]
	v_dual_sub_f32 v24, v96, v97 :: v_dual_sub_f32 v115, v73, v75
	v_sub_f32_e32 v26, v84, v81
	v_dual_add_f32 v108, v72, v73 :: v_dual_sub_f32 v121, v71, v70
	v_dual_sub_f32 v114, v72, v74 :: v_dual_add_f32 v125, v15, v65
	v_fma_f32 v4, -0.5, v4, v5
	v_dual_sub_f32 v58, v80, v82 :: v_dual_sub_f32 v123, v67, v69
	v_dual_add_f32 v116, v14, v69 :: v_dual_sub_f32 v129, v65, v32
	v_dual_add_f32 v117, v67, v70 :: v_dual_add_f32 v122, v69, v71
	v_dual_sub_f32 v124, v70, v71 :: v_dual_add_f32 v131, v65, v66
	v_add_f32_e32 v126, v32, v64
	v_dual_sub_f32 v111, v74, v72 :: v_dual_sub_f32 v112, v75, v73
	v_sub_f32_e32 v127, v29, v28
	v_sub_f32_e32 v120, v69, v67
	v_add_f32_e32 v16, v16, v17
	v_fma_f32 v5, -0.5, v18, v5
	v_add_f32_e32 v17, v19, v20
	v_fma_f32 v19, -0.5, v22, v10
	v_dual_add_f32 v22, v107, v72 :: v_dual_sub_f32 v109, v76, v79
	v_dual_sub_f32 v110, v77, v78 :: v_dual_sub_f32 v119, v34, v35
	v_add_f32_e32 v18, v21, v80
	v_add_f32_e32 v20, v25, v26
	v_fma_f32 v25, -0.5, v108, v6
	v_fmac_f32_e32 v10, -0.5, v27
	v_add_f32_e32 v27, v114, v115
	v_dual_fmamk_f32 v115, v7, 0xbf737871, v4 :: v_dual_add_f32 v2, v2, v101
	v_sub_f32_e32 v128, v30, v31
	v_sub_f32_e32 v130, v66, v64
	v_add_f32_e32 v21, v58, v61
	v_dual_add_f32 v61, v116, v67 :: v_dual_fmac_f32 v6, -0.5, v113
	v_fma_f32 v107, -0.5, v117, v14
	v_fma_f32 v14, -0.5, v122, v14
	;; [unrolled: 1-line block ×3, first 2 shown]
	s_delay_alu instid0(VALU_DEP_4)
	v_add_f32_e32 v61, v61, v70
	v_dual_fmac_f32 v15, -0.5, v131 :: v_dual_sub_f32 v118, v33, v68
	v_sub_f32_e32 v133, v64, v66
	v_dual_sub_f32 v132, v32, v65 :: v_dual_add_f32 v113, v129, v130
	v_add_f32_e32 v26, v111, v112
	v_dual_add_f32 v112, v125, v32 :: v_dual_fmamk_f32 v117, v23, 0xbf737871, v19
	v_dual_fmac_f32 v19, 0x3f737871, v23 :: v_dual_add_f32 v22, v22, v73
	v_fmamk_f32 v116, v11, 0x3f737871, v5
	v_dual_fmac_f32 v5, 0xbf737871, v11 :: v_dual_add_f32 v18, v18, v81
	v_fmac_f32_e32 v115, 0xbf167918, v11
	v_dual_fmac_f32 v4, 0x3f737871, v7 :: v_dual_add_f32 v111, v123, v124
	v_add_f32_e32 v2, v2, v102
	v_dual_add_f32 v108, v120, v121 :: v_dual_fmamk_f32 v123, v118, 0xbf737871, v107
	v_fmamk_f32 v121, v109, 0xbf737871, v25
	v_fmamk_f32 v120, v24, 0x3f737871, v10
	v_fmac_f32_e32 v10, 0xbf737871, v24
	v_dual_fmac_f32 v25, 0x3f737871, v109 :: v_dual_fmamk_f32 v122, v110, 0x3f737871, v6
	v_fmac_f32_e32 v6, 0xbf737871, v110
	v_fmamk_f32 v124, v119, 0x3f737871, v14
	v_fmac_f32_e32 v14, 0xbf737871, v119
	v_fmamk_f32 v126, v128, 0x3f737871, v15
	v_dual_fmac_f32 v15, 0xbf737871, v128 :: v_dual_add_f32 v114, v132, v133
	v_fmamk_f32 v125, v127, 0xbf737871, v58
	v_dual_fmac_f32 v107, 0x3f737871, v118 :: v_dual_fmac_f32 v58, 0x3f737871, v127
	v_dual_add_f32 v112, v112, v64 :: v_dual_fmac_f32 v121, 0xbf167918, v110
	s_delay_alu instid0(VALU_DEP_3)
	v_dual_fmac_f32 v116, 0xbf167918, v7 :: v_dual_fmac_f32 v125, 0xbf167918, v128
	v_fmac_f32_e32 v5, 0x3f167918, v7
	v_dual_add_f32 v7, v18, v84 :: v_dual_fmac_f32 v4, 0x3f167918, v11
	v_dual_fmac_f32 v19, 0x3f167918, v24 :: v_dual_add_f32 v2, v2, v103
	v_dual_fmac_f32 v117, 0xbf167918, v24 :: v_dual_fmac_f32 v120, 0xbf167918, v23
	v_dual_fmac_f32 v10, 0x3f167918, v23 :: v_dual_fmac_f32 v25, 0x3f167918, v110
	;; [unrolled: 1-line block ×5, first 2 shown]
	v_dual_add_f32 v18, v61, v71 :: v_dual_fmac_f32 v115, 0x3e9e377a, v16
	v_fmac_f32_e32 v124, 0xbf167918, v118
	v_fmac_f32_e32 v58, 0x3f167918, v128
	v_fmac_f32_e32 v126, 0xbf167918, v127
	v_dual_add_f32 v11, v22, v75 :: v_dual_add_f32 v22, v112, v66
	v_fmac_f32_e32 v5, 0x3e9e377a, v17
	v_dual_fmac_f32 v116, 0x3e9e377a, v17 :: v_dual_fmac_f32 v117, 0x3e9e377a, v20
	v_dual_fmac_f32 v4, 0x3e9e377a, v16 :: v_dual_fmac_f32 v121, 0x3e9e377a, v26
	;; [unrolled: 1-line block ×8, first 2 shown]
	v_fmac_f32_e32 v58, 0x3e9e377a, v113
	v_fmac_f32_e32 v126, 0x3e9e377a, v114
	ds_store_2addr_b32 v63, v2, v115 offset1:30
	ds_store_2addr_b32 v63, v116, v5 offset0:60 offset1:90
	ds_store_b32 v63, v4 offset:480
	ds_store_2addr_b32 v62, v7, v117 offset1:30
	ds_store_2addr_b32 v62, v120, v10 offset0:60 offset1:90
	ds_store_b32 v62, v19 offset:480
	;; [unrolled: 3-line block ×5, first 2 shown]
	global_wb scope:SCOPE_SE
	s_wait_dscnt 0x0
	s_barrier_signal -1
	s_barrier_wait -1
	global_inv scope:SCOPE_SE
	ds_load_2addr_b32 v[10:11], v53 offset1:180
	ds_load_2addr_b32 v[2:3], v3 offset0:118 offset1:238
	ds_load_2addr_b32 v[14:15], v45 offset0:100 offset1:220
	;; [unrolled: 1-line block ×10, first 2 shown]
	ds_load_b32 v60, v49
	ds_load_b32 v61, v53 offset:8520
	v_lshl_add_u32 v57, v94, 2, 0
	s_and_saveexec_b32 s1, s0
	s_cbranch_execz .LBB0_29
; %bb.28:
	ds_load_b32 v54, v53 offset:5880
	ds_load_b32 v58, v57 offset:2880
	;; [unrolled: 1-line block ×3, first 2 shown]
.LBB0_29:
	s_wait_alu 0xfffe
	s_or_b32 exec_lo, exec_lo, s1
	v_dual_add_f32 v42, v105, v106 :: v_dual_add_f32 v43, v8, v104
	v_dual_sub_f32 v44, v100, v103 :: v_dual_sub_f32 v45, v101, v102
	v_dual_add_f32 v101, v104, v99 :: v_dual_sub_f32 v102, v105, v104
	v_dual_sub_f32 v59, v104, v105 :: v_dual_sub_f32 v100, v99, v106
	s_delay_alu instid0(VALU_DEP_4) | instskip(SKIP_1) | instid1(VALU_DEP_4)
	v_fma_f32 v42, -0.5, v42, v8
	v_dual_add_f32 v43, v43, v105 :: v_dual_sub_f32 v104, v106, v99
	v_fma_f32 v8, -0.5, v101, v8
	s_delay_alu instid0(VALU_DEP_4) | instskip(NEXT) | instid1(VALU_DEP_4)
	v_add_f32_e32 v59, v59, v100
	v_dual_fmamk_f32 v103, v44, 0x3f737871, v42 :: v_dual_sub_f32 v82, v82, v84
	s_delay_alu instid0(VALU_DEP_4) | instskip(NEXT) | instid1(VALU_DEP_4)
	v_dual_add_f32 v43, v43, v106 :: v_dual_fmac_f32 v42, 0xbf737871, v44
	v_fmamk_f32 v100, v45, 0xbf737871, v8
	s_delay_alu instid0(VALU_DEP_3) | instskip(NEXT) | instid1(VALU_DEP_3)
	v_fmac_f32_e32 v103, 0x3f167918, v45
	v_dual_fmac_f32 v8, 0x3f737871, v45 :: v_dual_add_f32 v43, v43, v99
	s_delay_alu instid0(VALU_DEP_4) | instskip(NEXT) | instid1(VALU_DEP_4)
	v_fmac_f32_e32 v42, 0xbf167918, v45
	v_dual_add_f32 v101, v96, v97 :: v_dual_fmac_f32 v100, 0x3f167918, v44
	v_dual_add_f32 v99, v102, v104 :: v_dual_add_f32 v102, v36, v83
	s_delay_alu instid0(VALU_DEP_3) | instskip(NEXT) | instid1(VALU_DEP_3)
	v_fmac_f32_e32 v42, 0x3e9e377a, v59
	v_fma_f32 v101, -0.5, v101, v36
	v_fmac_f32_e32 v103, 0x3e9e377a, v59
	s_delay_alu instid0(VALU_DEP_4) | instskip(NEXT) | instid1(VALU_DEP_3)
	v_dual_fmac_f32 v100, 0x3e9e377a, v99 :: v_dual_add_f32 v45, v102, v96
	v_dual_sub_f32 v59, v80, v81 :: v_dual_fmamk_f32 v84, v82, 0x3f737871, v101
	v_dual_sub_f32 v80, v83, v96 :: v_dual_sub_f32 v81, v98, v97
	v_add_f32_e32 v102, v83, v98
	v_fmac_f32_e32 v8, 0xbf167918, v44
	v_dual_add_f32 v44, v45, v97 :: v_dual_fmac_f32 v101, 0xbf737871, v82
	s_delay_alu instid0(VALU_DEP_4) | instskip(NEXT) | instid1(VALU_DEP_4)
	v_dual_fmac_f32 v84, 0x3f167918, v59 :: v_dual_add_f32 v45, v80, v81
	v_fmac_f32_e32 v36, -0.5, v102
	s_delay_alu instid0(VALU_DEP_4) | instskip(SKIP_4) | instid1(VALU_DEP_3)
	v_fmac_f32_e32 v8, 0x3e9e377a, v99
	v_sub_f32_e32 v81, v96, v83
	v_sub_f32_e32 v83, v97, v98
	v_add_f32_e32 v97, v77, v78
	v_dual_fmac_f32 v101, 0xbf167918, v59 :: v_dual_add_f32 v96, v9, v76
	v_dual_add_f32 v44, v44, v98 :: v_dual_add_f32 v81, v81, v83
	s_delay_alu instid0(VALU_DEP_3) | instskip(NEXT) | instid1(VALU_DEP_3)
	v_fma_f32 v83, -0.5, v97, v9
	v_dual_sub_f32 v74, v74, v75 :: v_dual_fmac_f32 v101, 0x3e9e377a, v45
	v_fmamk_f32 v80, v59, 0xbf737871, v36
	v_sub_f32_e32 v72, v72, v73
	v_dual_sub_f32 v73, v76, v77 :: v_dual_fmac_f32 v36, 0x3f737871, v59
	s_delay_alu instid0(VALU_DEP_4)
	v_fmamk_f32 v75, v74, 0x3f737871, v83
	v_add_f32_e32 v59, v96, v77
	v_fmac_f32_e32 v84, 0x3e9e377a, v45
	v_fmac_f32_e32 v80, 0x3f167918, v82
	v_fmac_f32_e32 v83, 0xbf737871, v74
	v_sub_f32_e32 v67, v67, v70
	v_add_f32_e32 v45, v59, v78
	s_delay_alu instid0(VALU_DEP_4) | instskip(SKIP_1) | instid1(VALU_DEP_3)
	v_dual_add_f32 v59, v76, v79 :: v_dual_fmac_f32 v80, 0x3e9e377a, v81
	v_fmac_f32_e32 v36, 0xbf167918, v82
	v_dual_sub_f32 v82, v79, v78 :: v_dual_add_f32 v45, v45, v79
	s_delay_alu instid0(VALU_DEP_3) | instskip(NEXT) | instid1(VALU_DEP_3)
	v_dual_fmac_f32 v9, -0.5, v59 :: v_dual_sub_f32 v76, v77, v76
	v_dual_fmac_f32 v36, 0x3e9e377a, v81 :: v_dual_sub_f32 v77, v78, v79
	s_delay_alu instid0(VALU_DEP_3) | instskip(SKIP_1) | instid1(VALU_DEP_4)
	v_add_f32_e32 v59, v73, v82
	v_fmac_f32_e32 v75, 0x3f167918, v72
	v_dual_fmamk_f32 v73, v72, 0xbf737871, v9 :: v_dual_add_f32 v78, v34, v35
	v_fmac_f32_e32 v83, 0xbf167918, v72
	v_dual_fmac_f32 v9, 0x3f737871, v72 :: v_dual_sub_f32 v70, v33, v34
	s_delay_alu instid0(VALU_DEP_4) | instskip(NEXT) | instid1(VALU_DEP_4)
	v_dual_add_f32 v72, v12, v33 :: v_dual_fmac_f32 v75, 0x3e9e377a, v59
	v_dual_add_f32 v76, v76, v77 :: v_dual_fmac_f32 v73, 0x3f167918, v74
	v_fma_f32 v77, -0.5, v78, v12
	v_fmac_f32_e32 v83, 0x3e9e377a, v59
	s_delay_alu instid0(VALU_DEP_4)
	v_add_f32_e32 v59, v72, v34
	v_sub_f32_e32 v72, v68, v35
	v_sub_f32_e32 v69, v69, v71
	;; [unrolled: 1-line block ×3, first 2 shown]
	v_add_f32_e32 v66, v29, v28
	v_sub_f32_e32 v32, v32, v64
	s_delay_alu instid0(VALU_DEP_4) | instskip(SKIP_4) | instid1(VALU_DEP_4)
	v_dual_add_f32 v70, v70, v72 :: v_dual_fmamk_f32 v71, v69, 0x3f737871, v77
	v_fmac_f32_e32 v77, 0xbf737871, v69
	v_add_f32_e32 v59, v59, v35
	v_dual_fmac_f32 v9, 0xbf167918, v74 :: v_dual_add_f32 v74, v33, v68
	v_sub_f32_e32 v64, v28, v31
	v_fmac_f32_e32 v77, 0xbf167918, v67
	global_wb scope:SCOPE_SE
	s_wait_dscnt 0x0
	s_barrier_signal -1
	v_fma_f32 v12, -0.5, v74, v12
	v_dual_sub_f32 v33, v34, v33 :: v_dual_sub_f32 v34, v35, v68
	v_fmac_f32_e32 v71, 0x3f167918, v67
	v_fmac_f32_e32 v77, 0x3e9e377a, v70
	v_add_f32_e32 v35, v13, v29
	v_fmac_f32_e32 v73, 0x3e9e377a, v76
	v_add_f32_e32 v33, v33, v34
	v_fmac_f32_e32 v71, 0x3e9e377a, v70
	v_fmamk_f32 v70, v67, 0xbf737871, v12
	v_add_f32_e32 v34, v35, v30
	s_barrier_wait -1
	global_inv scope:SCOPE_SE
	v_fmac_f32_e32 v70, 0x3f167918, v69
	v_fmac_f32_e32 v12, 0x3f737871, v67
	s_delay_alu instid0(VALU_DEP_1) | instskip(SKIP_1) | instid1(VALU_DEP_1)
	v_fmac_f32_e32 v12, 0xbf167918, v69
	v_dual_add_f32 v72, v59, v68 :: v_dual_add_f32 v59, v30, v31
	v_fma_f32 v59, -0.5, v59, v13
	v_fmac_f32_e32 v13, -0.5, v66
	s_delay_alu instid0(VALU_DEP_1) | instskip(NEXT) | instid1(VALU_DEP_1)
	v_fmamk_f32 v66, v32, 0xbf737871, v13
	v_fmac_f32_e32 v66, 0x3f167918, v65
	v_dual_fmac_f32 v9, 0x3e9e377a, v76 :: v_dual_fmac_f32 v70, 0x3e9e377a, v33
	v_dual_fmac_f32 v12, 0x3e9e377a, v33 :: v_dual_add_f32 v33, v34, v31
	v_dual_sub_f32 v34, v29, v30 :: v_dual_sub_f32 v29, v30, v29
	v_sub_f32_e32 v30, v31, v28
	s_delay_alu instid0(VALU_DEP_3) | instskip(SKIP_1) | instid1(VALU_DEP_4)
	v_add_f32_e32 v28, v33, v28
	v_fmac_f32_e32 v13, 0x3f737871, v32
	v_add_f32_e32 v31, v34, v64
	s_delay_alu instid0(VALU_DEP_4) | instskip(SKIP_2) | instid1(VALU_DEP_3)
	v_dual_add_f32 v29, v29, v30 :: v_dual_add_nc_u32 v30, 0xc00, v53
	v_add_nc_u32_e32 v33, 0x1a00, v53
	v_add_nc_u32_e32 v34, 0x600, v53
	v_fmac_f32_e32 v66, 0x3e9e377a, v29
	v_fmamk_f32 v35, v65, 0x3f737871, v59
	v_fmac_f32_e32 v59, 0xbf737871, v65
	v_fmac_f32_e32 v13, 0xbf167918, v65
	s_delay_alu instid0(VALU_DEP_3) | instskip(NEXT) | instid1(VALU_DEP_3)
	v_fmac_f32_e32 v35, 0x3f167918, v32
	v_fmac_f32_e32 v59, 0xbf167918, v32
	s_delay_alu instid0(VALU_DEP_3) | instskip(SKIP_1) | instid1(VALU_DEP_4)
	v_fmac_f32_e32 v13, 0x3e9e377a, v29
	v_add_nc_u32_e32 v32, 0xe00, v53
	v_fmac_f32_e32 v35, 0x3e9e377a, v31
	s_delay_alu instid0(VALU_DEP_4)
	v_fmac_f32_e32 v59, 0x3e9e377a, v31
	ds_store_2addr_b32 v63, v43, v103 offset1:30
	ds_store_2addr_b32 v63, v100, v8 offset0:60 offset1:90
	ds_store_b32 v63, v42 offset:480
	ds_store_2addr_b32 v62, v44, v84 offset1:30
	ds_store_2addr_b32 v62, v80, v36 offset0:60 offset1:90
	ds_store_b32 v62, v101 offset:480
	;; [unrolled: 3-line block ×5, first 2 shown]
	v_add_nc_u32_e32 v8, 0x800, v53
	v_add_nc_u32_e32 v12, 0x1400, v53
	global_wb scope:SCOPE_SE
	s_wait_dscnt 0x0
	s_barrier_signal -1
	s_barrier_wait -1
	global_inv scope:SCOPE_SE
	ds_load_2addr_b32 v[28:29], v53 offset1:180
	ds_load_2addr_b32 v[8:9], v8 offset0:118 offset1:238
	ds_load_2addr_b32 v[12:13], v12 offset0:100 offset1:220
	;; [unrolled: 1-line block ×3, first 2 shown]
	v_add_nc_u32_e32 v30, 0x400, v53
	v_add_nc_u32_e32 v35, 0x1c00, v53
	ds_load_2addr_b32 v[44:45], v38 offset0:54 offset1:144
	ds_load_2addr_b32 v[30:31], v30 offset0:14 offset1:104
	;; [unrolled: 1-line block ×7, first 2 shown]
	ds_load_b32 v62, v49
	ds_load_b32 v63, v53 offset:8520
	s_and_saveexec_b32 s1, s0
	s_cbranch_execz .LBB0_31
; %bb.30:
	ds_load_b32 v56, v53 offset:5880
	ds_load_b32 v59, v57 offset:2880
	;; [unrolled: 1-line block ×3, first 2 shown]
.LBB0_31:
	s_wait_alu 0xfffe
	s_or_b32 exec_lo, exec_lo, s1
	v_lshrrev_b16 v66, 1, v48
	v_dual_mov_b32 v65, 0 :: v_dual_lshlrev_b32 v64, 1, v94
	v_subrev_nc_u32_e32 v67, 60, v94
	v_cmp_gt_u32_e64 s1, 60, v94
	s_delay_alu instid0(VALU_DEP_4)
	v_and_b32_e32 v66, 0xffff, v66
	v_lshrrev_b16 v71, 1, v93
	v_mov_b32_e32 v69, v65
	v_lshrrev_b16 v70, 1, v46
	s_wait_alu 0xf1ff
	v_cndmask_b32_e64 v72, v67, v95, s1
	v_mul_u32_u24_e32 v73, 0xda75, v66
	v_lshlrev_b64_e32 v[66:67], 3, v[64:65]
	s_delay_alu instid0(VALU_DEP_2) | instskip(NEXT) | instid1(VALU_DEP_2)
	v_lshrrev_b32_e32 v73, 22, v73
	v_add_co_u32 v66, s1, s4, v66
	s_wait_alu 0xf1ff
	s_delay_alu instid0(VALU_DEP_3) | instskip(NEXT) | instid1(VALU_DEP_3)
	v_add_co_ci_u32_e64 v67, s1, s5, v67, s1
	v_mul_lo_u16 v78, 0x96, v73
	global_load_b128 v[74:77], v[66:67], off offset:1120
	v_add_nc_u32_e32 v64, 60, v64
	v_lshlrev_b32_e32 v68, 1, v72
	v_sub_nc_u16 v66, v48, v78
	s_delay_alu instid0(VALU_DEP_3) | instskip(NEXT) | instid1(VALU_DEP_3)
	v_lshlrev_b64_e32 v[64:65], 3, v[64:65]
	v_lshlrev_b64_e32 v[68:69], 3, v[68:69]
	s_delay_alu instid0(VALU_DEP_2) | instskip(SKIP_1) | instid1(VALU_DEP_3)
	v_add_co_u32 v64, s1, s4, v64
	s_wait_alu 0xf1ff
	v_add_co_ci_u32_e64 v65, s1, s5, v65, s1
	global_load_b128 v[78:81], v[64:65], off offset:1120
	v_and_b32_e32 v82, 0xffff, v66
	v_add_co_u32 v66, s1, s4, v68
	s_wait_alu 0xf1ff
	v_add_co_ci_u32_e64 v67, s1, s5, v69, s1
	v_cmp_lt_u32_e64 s1, 59, v94
	global_load_b128 v[96:99], v[66:67], off offset:1120
	v_lshrrev_b16 v65, 1, v89
	v_and_b32_e32 v68, 0xffff, v71
	v_lshlrev_b32_e32 v64, 4, v82
	v_add_nc_u32_e32 v83, 0x600, v57
	s_delay_alu instid0(VALU_DEP_4) | instskip(NEXT) | instid1(VALU_DEP_4)
	v_and_b32_e32 v65, 0xffff, v65
	v_mul_u32_u24_e32 v67, 0xda75, v68
	v_lshrrev_b16 v68, 1, v51
	global_load_b128 v[100:103], v64, s[4:5] offset:1120
	v_mul_u32_u24_e32 v65, 0xda75, v65
	v_lshrrev_b32_e32 v67, 22, v67
	v_and_b32_e32 v68, 0xffff, v68
	s_delay_alu instid0(VALU_DEP_3) | instskip(NEXT) | instid1(VALU_DEP_3)
	v_lshrrev_b32_e32 v65, 22, v65
	v_mul_lo_u16 v67, 0x96, v67
	s_delay_alu instid0(VALU_DEP_3) | instskip(NEXT) | instid1(VALU_DEP_3)
	v_mul_u32_u24_e32 v68, 0xda75, v68
	v_mul_lo_u16 v69, 0x96, v65
	s_delay_alu instid0(VALU_DEP_3) | instskip(NEXT) | instid1(VALU_DEP_3)
	v_sub_nc_u16 v67, v93, v67
	v_lshrrev_b32_e32 v68, 22, v68
	v_mul_u32_u24_e32 v71, 0x708, v65
	s_delay_alu instid0(VALU_DEP_4) | instskip(NEXT) | instid1(VALU_DEP_4)
	v_sub_nc_u16 v69, v89, v69
	v_and_b32_e32 v67, 0xffff, v67
	s_delay_alu instid0(VALU_DEP_4) | instskip(NEXT) | instid1(VALU_DEP_3)
	v_mul_lo_u16 v68, 0x96, v68
	v_and_b32_e32 v69, 0xffff, v69
	s_delay_alu instid0(VALU_DEP_2) | instskip(NEXT) | instid1(VALU_DEP_2)
	v_sub_nc_u16 v51, v51, v68
	v_lshlrev_b32_e32 v68, 4, v69
	global_load_b128 v[112:115], v68, s[4:5] offset:1120
	v_mul_u32_u24_e32 v68, 0x708, v73
	v_lshrrev_b16 v64, 1, v50
	s_delay_alu instid0(VALU_DEP_1) | instskip(NEXT) | instid1(VALU_DEP_1)
	v_and_b32_e32 v64, 0xffff, v64
	v_mul_u32_u24_e32 v64, 0xda75, v64
	s_delay_alu instid0(VALU_DEP_1) | instskip(NEXT) | instid1(VALU_DEP_1)
	v_lshrrev_b32_e32 v64, 22, v64
	v_mul_lo_u16 v64, 0x96, v64
	s_delay_alu instid0(VALU_DEP_1) | instskip(SKIP_1) | instid1(VALU_DEP_2)
	v_sub_nc_u16 v50, v50, v64
	v_lshlrev_b32_e32 v64, 4, v67
	v_and_b32_e32 v50, 0xffff, v50
	global_load_b128 v[108:111], v64, s[4:5] offset:1120
	s_wait_loadcnt_dscnt 0x50a
	v_dual_mul_f32 v73, v13, v77 :: v_dual_and_b32 v70, 0xffff, v70
	s_delay_alu instid0(VALU_DEP_1) | instskip(NEXT) | instid1(VALU_DEP_2)
	v_fmac_f32_e32 v73, v15, v76
	v_mul_u32_u24_e32 v66, 0xda75, v70
	s_delay_alu instid0(VALU_DEP_1) | instskip(NEXT) | instid1(VALU_DEP_1)
	v_lshrrev_b32_e32 v66, 22, v66
	v_mul_lo_u16 v66, 0x96, v66
	s_delay_alu instid0(VALU_DEP_1) | instskip(NEXT) | instid1(VALU_DEP_1)
	v_sub_nc_u16 v66, v46, v66
	v_and_b32_e32 v66, 0xffff, v66
	s_delay_alu instid0(VALU_DEP_1) | instskip(SKIP_3) | instid1(VALU_DEP_2)
	v_lshlrev_b32_e32 v70, 4, v66
	global_load_b128 v[104:107], v70, s[4:5] offset:1120
	v_and_b32_e32 v70, 0xffff, v51
	v_lshlrev_b32_e32 v51, 4, v50
	v_lshlrev_b32_e32 v64, 4, v70
	s_clause 0x1
	global_load_b128 v[116:119], v51, s[4:5] offset:1120
	global_load_b128 v[120:123], v64, s[4:5] offset:1120
	s_wait_alu 0xf1ff
	v_cndmask_b32_e64 v51, 0, 0x708, s1
	v_lshlrev_b32_e32 v64, 2, v72
	global_wb scope:SCOPE_SE
	s_wait_loadcnt_dscnt 0x0
	s_barrier_signal -1
	s_barrier_wait -1
	global_inv scope:SCOPE_SE
	v_add3_u32 v51, 0, v51, v64
	v_lshl_add_u32 v64, v66, 2, 0
	v_lshl_add_u32 v66, v50, 2, 0
	;; [unrolled: 1-line block ×3, first 2 shown]
	v_mul_f32_e32 v70, v15, v77
	v_mul_f32_e32 v15, v43, v79
	v_lshl_add_u32 v65, v67, 2, 0
	s_delay_alu instid0(VALU_DEP_2) | instskip(SKIP_1) | instid1(VALU_DEP_1)
	v_fmac_f32_e32 v15, v27, v78
	v_lshlrev_b32_e32 v72, 2, v82
	v_add3_u32 v68, 0, v68, v72
	v_mul_f32_e32 v72, v9, v75
	s_delay_alu instid0(VALU_DEP_1) | instskip(SKIP_3) | instid1(VALU_DEP_3)
	v_dual_fmac_f32 v72, v3, v74 :: v_dual_lshlrev_b32 v67, 2, v69
	v_mul_f32_e32 v69, v3, v75
	v_mul_f32_e32 v3, v27, v79
	;; [unrolled: 1-line block ×3, first 2 shown]
	v_fma_f32 v77, v9, v74, -v69
	v_mul_f32_e32 v74, v42, v97
	v_mul_f32_e32 v69, v45, v81
	s_delay_alu instid0(VALU_DEP_2)
	v_dual_mul_f32 v9, v25, v81 :: v_dual_fmac_f32 v74, v26, v96
	v_add3_u32 v67, 0, v71, v67
	v_fma_f32 v71, v13, v76, -v70
	v_mul_f32_e32 v76, v44, v99
	v_fma_f32 v70, v43, v78, -v3
	v_add_f32_e32 v3, v10, v72
	v_fmac_f32_e32 v69, v25, v80
	v_fma_f32 v27, v45, v80, -v9
	v_add_f32_e32 v9, v72, v73
	s_delay_alu instid0(VALU_DEP_4)
	v_dual_fmac_f32 v76, v24, v98 :: v_dual_add_f32 v81, v3, v73
	v_add_f32_e32 v3, v11, v15
	v_mul_f32_e32 v13, v26, v97
	v_sub_f32_e32 v25, v77, v71
	v_fma_f32 v80, -0.5, v9, v10
	v_mul_f32_e32 v45, v40, v101
	v_add_f32_e32 v126, v3, v69
	v_mul_f32_e32 v101, v22, v101
	v_dual_add_f32 v99, v74, v76 :: v_dual_add_nc_u32 v84, 0x1400, v65
	v_mul_f32_e32 v3, v37, v113
	v_fma_f32 v79, v42, v96, -v13
	v_fma_f32 v78, v44, v98, -v75
	v_dual_add_f32 v9, v15, v69 :: v_dual_sub_f32 v96, v70, v27
	v_fmamk_f32 v97, v25, 0xbf5db3d7, v80
	v_dual_fmac_f32 v80, 0x3f5db3d7, v25 :: v_dual_mul_f32 v75, v38, v103
	v_add_f32_e32 v98, v60, v74
	v_dual_fmac_f32 v60, -0.5, v99 :: v_dual_fmac_f32 v3, v19, v112
	v_dual_sub_f32 v125, v79, v78 :: v_dual_add_nc_u32 v82, 0xe00, v64
	v_dual_fmac_f32 v11, -0.5, v9 :: v_dual_add_nc_u32 v124, 0x1c00, v66
	v_mul_f32_e32 v103, v20, v103
	v_fma_f32 v40, v40, v100, -v101
	ds_store_2addr_b32 v53, v81, v97 offset1:150
	ds_store_b32 v53, v80 offset:1200
	v_dual_mul_f32 v25, v36, v109 :: v_dual_mul_f32 v10, v35, v115
	v_mul_f32_e32 v109, v18, v109
	v_dual_mul_f32 v44, v34, v111 :: v_dual_mul_f32 v113, v19, v113
	v_fma_f32 v38, v38, v102, -v103
	s_delay_alu instid0(VALU_DEP_4) | instskip(NEXT) | instid1(VALU_DEP_3)
	v_fmac_f32_e32 v10, v17, v114
	v_fmac_f32_e32 v44, v16, v110
	v_dual_mul_f32 v24, v41, v105 :: v_dual_mul_f32 v43, v39, v107
	v_mul_f32_e32 v107, v21, v107
	v_mul_f32_e32 v105, v23, v105
	v_dual_mul_f32 v111, v16, v111 :: v_dual_add_f32 v98, v98, v76
	s_delay_alu instid0(VALU_DEP_4) | instskip(NEXT) | instid1(VALU_DEP_3)
	v_dual_mul_f32 v115, v17, v115 :: v_dual_fmac_f32 v24, v23, v104
	v_fma_f32 v23, v41, v104, -v105
	v_mul_f32_e32 v9, v12, v117
	v_dual_mul_f32 v26, v56, v121 :: v_dual_mul_f32 v13, v63, v119
	v_mul_f32_e32 v119, v61, v119
	v_mul_f32_e32 v42, v55, v123
	v_fma_f32 v16, v35, v114, -v115
	s_delay_alu instid0(VALU_DEP_4)
	v_dual_fmac_f32 v26, v54, v120 :: v_dual_fmac_f32 v13, v61, v118
	v_add_f32_e32 v61, v7, v3
	v_fmac_f32_e32 v45, v22, v100
	v_fma_f32 v22, v36, v108, -v109
	v_fmac_f32_e32 v75, v20, v102
	v_mul_f32_e32 v121, v54, v121
	v_fma_f32 v20, v34, v110, -v111
	v_dual_mul_f32 v117, v14, v117 :: v_dual_fmac_f32 v42, v52, v122
	s_delay_alu instid0(VALU_DEP_4) | instskip(NEXT) | instid1(VALU_DEP_4)
	v_add_f32_e32 v34, v45, v75
	v_fma_f32 v36, v56, v120, -v121
	s_delay_alu instid0(VALU_DEP_4) | instskip(SKIP_1) | instid1(VALU_DEP_4)
	v_dual_sub_f32 v56, v22, v20 :: v_dual_add_f32 v19, v4, v45
	v_fmac_f32_e32 v9, v14, v116
	v_fma_f32 v4, -0.5, v34, v4
	v_fmac_f32_e32 v25, v18, v108
	v_fma_f32 v18, v37, v112, -v113
	v_fmac_f32_e32 v43, v21, v106
	v_fma_f32 v21, v39, v106, -v107
	v_mul_f32_e32 v123, v52, v123
	s_delay_alu instid0(VALU_DEP_4) | instskip(NEXT) | instid1(VALU_DEP_3)
	v_dual_sub_f32 v37, v40, v38 :: v_dual_sub_f32 v80, v18, v16
	v_dual_add_f32 v41, v24, v43 :: v_dual_sub_f32 v52, v23, v21
	s_delay_alu instid0(VALU_DEP_3) | instskip(SKIP_2) | instid1(VALU_DEP_4)
	v_fma_f32 v35, v55, v122, -v123
	v_add_f32_e32 v39, v5, v24
	v_fma_f32 v14, v12, v116, -v117
	v_fmac_f32_e32 v5, -0.5, v41
	v_fmamk_f32 v41, v37, 0xbf5db3d7, v4
	v_dual_fmac_f32 v4, 0x3f5db3d7, v37 :: v_dual_add_f32 v55, v25, v44
	v_dual_fmamk_f32 v99, v96, 0xbf5db3d7, v11 :: v_dual_add_f32 v54, v6, v25
	v_dual_fmac_f32 v11, 0x3f5db3d7, v96 :: v_dual_add_f32 v96, v9, v13
	s_delay_alu instid0(VALU_DEP_3)
	v_fma_f32 v6, -0.5, v55, v6
	v_fmamk_f32 v17, v125, 0xbf5db3d7, v60
	v_fmac_f32_e32 v60, 0x3f5db3d7, v125
	v_fma_f32 v12, v63, v118, -v119
	v_fmamk_f32 v37, v52, 0xbf5db3d7, v5
	v_fmac_f32_e32 v5, 0x3f5db3d7, v52
	v_dual_fmamk_f32 v52, v56, 0xbf5db3d7, v6 :: v_dual_add_f32 v63, v3, v10
	v_add_f32_e32 v81, v2, v9
	v_sub_f32_e32 v97, v14, v12
	ds_store_2addr_b32 v51, v98, v17 offset1:150
	ds_store_b32 v51, v60 offset:1200
	ds_store_2addr_b32 v83, v126, v99 offset0:96 offset1:246
	ds_store_b32 v57, v11 offset:3120
	v_dual_fmac_f32 v2, -0.5, v96 :: v_dual_fmac_f32 v7, -0.5, v63
	v_dual_fmac_f32 v6, 0x3f5db3d7, v56 :: v_dual_add_f32 v11, v19, v75
	v_add_f32_e32 v17, v39, v43
	s_delay_alu instid0(VALU_DEP_3)
	v_dual_add_f32 v19, v54, v44 :: v_dual_fmamk_f32 v54, v80, 0xbf5db3d7, v7
	v_add_f32_e32 v34, v61, v10
	v_add_f32_e32 v39, v81, v13
	v_fmac_f32_e32 v7, 0x3f5db3d7, v80
	v_fmamk_f32 v55, v97, 0xbf5db3d7, v2
	v_fmac_f32_e32 v2, 0x3f5db3d7, v97
	ds_store_2addr_b32 v68, v11, v41 offset1:150
	ds_store_b32 v68, v4 offset:1200
	ds_store_2addr_b32 v82, v17, v37 offset0:4 offset1:154
	ds_store_2addr_b32 v84, v19, v52 offset0:70 offset1:220
	ds_store_b32 v64, v5 offset:4800
	ds_store_b32 v65, v6 offset:6600
	ds_store_2addr_b32 v67, v34, v54 offset1:150
	ds_store_b32 v67, v7 offset:1200
	ds_store_2addr_b32 v124, v39, v55 offset0:8 offset1:158
	ds_store_b32 v66, v2 offset:8400
	s_and_saveexec_b32 s1, s0
	s_cbranch_execz .LBB0_33
; %bb.32:
	v_add_f32_e32 v2, v26, v42
	v_dual_sub_f32 v4, v36, v35 :: v_dual_add_f32 v5, v58, v26
	v_add_nc_u32_e32 v6, 0x1c00, v50
	s_delay_alu instid0(VALU_DEP_3) | instskip(NEXT) | instid1(VALU_DEP_3)
	v_fma_f32 v2, -0.5, v2, v58
	v_add_f32_e32 v5, v5, v42
	s_delay_alu instid0(VALU_DEP_2)
	v_fmamk_f32 v7, v4, 0x3f5db3d7, v2
	v_fmac_f32_e32 v2, 0xbf5db3d7, v4
	ds_store_2addr_b32 v6, v5, v2 offset0:8 offset1:158
	ds_store_b32 v50, v7 offset:8400
.LBB0_33:
	s_wait_alu 0xfffe
	s_or_b32 exec_lo, exec_lo, s1
	v_dual_add_f32 v2, v77, v71 :: v_dual_sub_f32 v5, v72, v73
	v_dual_add_f32 v4, v28, v77 :: v_dual_sub_f32 v7, v74, v76
	v_add_f32_e32 v6, v79, v78
	s_delay_alu instid0(VALU_DEP_3) | instskip(SKIP_1) | instid1(VALU_DEP_4)
	v_fma_f32 v11, -0.5, v2, v28
	v_add_f32_e32 v2, v62, v79
	v_dual_add_f32 v37, v4, v71 :: v_dual_add_f32 v4, v29, v70
	s_delay_alu instid0(VALU_DEP_3) | instskip(SKIP_1) | instid1(VALU_DEP_4)
	v_dual_fmac_f32 v62, -0.5, v6 :: v_dual_fmamk_f32 v39, v5, 0x3f5db3d7, v11
	v_fmac_f32_e32 v11, 0xbf5db3d7, v5
	v_add_f32_e32 v41, v2, v78
	v_dual_add_f32 v2, v70, v27 :: v_dual_add_f32 v5, v40, v38
	s_delay_alu instid0(VALU_DEP_4)
	v_fmamk_f32 v52, v7, 0x3f5db3d7, v62
	v_fmac_f32_e32 v62, 0xbf5db3d7, v7
	global_wb scope:SCOPE_SE
	s_wait_dscnt 0x0
	v_dual_fmac_f32 v29, -0.5, v2 :: v_dual_sub_f32 v2, v15, v69
	v_add_f32_e32 v54, v4, v27
	v_add_f32_e32 v4, v30, v40
	v_fma_f32 v30, -0.5, v5, v30
	v_sub_f32_e32 v5, v45, v75
	s_barrier_signal -1
	s_barrier_wait -1
	global_inv scope:SCOPE_SE
	v_add_nc_u32_e32 v6, 0x1a00, v53
	v_dual_fmamk_f32 v45, v5, 0x3f5db3d7, v30 :: v_dual_add_f32 v38, v4, v38
	v_add_f32_e32 v4, v31, v23
	v_fmamk_f32 v40, v2, 0x3f5db3d7, v29
	v_dual_fmac_f32 v29, 0xbf5db3d7, v2 :: v_dual_add_f32 v2, v23, v21
	v_add_nc_u32_e32 v69, 0x2000, v53
	v_add_nc_u32_e32 v7, 0x1c00, v53
	s_delay_alu instid0(VALU_DEP_3) | instskip(SKIP_3) | instid1(VALU_DEP_3)
	v_dual_fmac_f32 v31, -0.5, v2 :: v_dual_sub_f32 v2, v24, v43
	v_dual_fmac_f32 v30, 0xbf5db3d7, v5 :: v_dual_add_f32 v5, v22, v20
	v_add_f32_e32 v43, v4, v21
	v_add_f32_e32 v4, v32, v22
	v_fma_f32 v32, -0.5, v5, v32
	v_sub_f32_e32 v5, v25, v44
	s_delay_alu instid0(VALU_DEP_1) | instskip(SKIP_3) | instid1(VALU_DEP_3)
	v_fmamk_f32 v56, v5, 0x3f5db3d7, v32
	v_dual_fmac_f32 v32, 0xbf5db3d7, v5 :: v_dual_add_f32 v5, v33, v18
	v_fmamk_f32 v44, v2, 0x3f5db3d7, v31
	v_dual_fmac_f32 v31, 0xbf5db3d7, v2 :: v_dual_add_f32 v2, v18, v16
	v_dual_add_f32 v58, v5, v16 :: v_dual_add_nc_u32 v5, 0xc00, v53
	s_delay_alu instid0(VALU_DEP_2) | instskip(SKIP_1) | instid1(VALU_DEP_1)
	v_fmac_f32_e32 v33, -0.5, v2
	v_sub_f32_e32 v2, v3, v10
	v_dual_add_f32 v3, v8, v14 :: v_dual_fmamk_f32 v60, v2, 0x3f5db3d7, v33
	s_delay_alu instid0(VALU_DEP_1) | instskip(SKIP_2) | instid1(VALU_DEP_1)
	v_add_f32_e32 v61, v3, v12
	v_add_f32_e32 v55, v4, v20
	v_dual_add_f32 v4, v14, v12 :: v_dual_fmac_f32 v33, 0xbf5db3d7, v2
	v_fmac_f32_e32 v8, -0.5, v4
	v_sub_f32_e32 v4, v9, v13
	s_delay_alu instid0(VALU_DEP_1)
	v_fmamk_f32 v63, v4, 0x3f5db3d7, v8
	v_fmac_f32_e32 v8, 0xbf5db3d7, v4
	v_add_nc_u32_e32 v4, 0x600, v53
	ds_load_2addr_b32 v[2:3], v53 offset1:180
	ds_load_2addr_b32 v[12:13], v4 offset0:66 offset1:156
	v_add_nc_u32_e32 v4, 0x1400, v53
	ds_load_2addr_b32 v[14:15], v5 offset0:42 offset1:132
	v_add_nc_u32_e32 v5, 0xe00, v53
	ds_load_2addr_b32 v[18:19], v4 offset0:70 offset1:160
	ds_load_2addr_b32 v[16:17], v6 offset0:46 offset1:136
	ds_load_b32 v34, v49
	ds_load_2addr_b32 v[24:25], v5 offset0:94 offset1:184
	ds_load_2addr_b32 v[22:23], v7 offset0:98 offset1:188
	v_add_nc_u32_e32 v4, 0x800, v53
	v_add_nc_u32_e32 v5, 0x1600, v53
	;; [unrolled: 1-line block ×4, first 2 shown]
	ds_load_2addr_b32 v[9:10], v4 offset0:118 offset1:208
	ds_load_2addr_b32 v[20:21], v5 offset0:122 offset1:212
	;; [unrolled: 1-line block ×5, first 2 shown]
	v_add_nc_u32_e32 v69, 0x600, v57
	global_wb scope:SCOPE_SE
	s_wait_dscnt 0x0
	s_barrier_signal -1
	s_barrier_wait -1
	global_inv scope:SCOPE_SE
	ds_store_2addr_b32 v53, v37, v39 offset1:150
	ds_store_b32 v53, v11 offset:1200
	ds_store_2addr_b32 v51, v41, v52 offset1:150
	ds_store_b32 v51, v62 offset:1200
	ds_store_2addr_b32 v69, v54, v40 offset0:96 offset1:246
	v_add_nc_u32_e32 v11, 0xe00, v64
	v_add_nc_u32_e32 v37, 0x1400, v65
	ds_store_b32 v57, v29 offset:3120
	ds_store_2addr_b32 v68, v38, v45 offset1:150
	ds_store_b32 v68, v30 offset:1200
	ds_store_2addr_b32 v11, v43, v44 offset0:4 offset1:154
	ds_store_2addr_b32 v37, v55, v56 offset0:70 offset1:220
	v_add_nc_u32_e32 v11, 0x1c00, v66
	ds_store_b32 v64, v31 offset:4800
	ds_store_b32 v65, v32 offset:6600
	ds_store_2addr_b32 v67, v58, v60 offset1:150
	ds_store_b32 v67, v33 offset:1200
	ds_store_2addr_b32 v11, v61, v63 offset0:8 offset1:158
	ds_store_b32 v66, v8 offset:8400
	s_and_saveexec_b32 s1, s0
	s_cbranch_execz .LBB0_35
; %bb.34:
	v_dual_add_f32 v8, v36, v35 :: v_dual_add_f32 v11, v59, v36
	s_delay_alu instid0(VALU_DEP_1) | instskip(NEXT) | instid1(VALU_DEP_2)
	v_dual_sub_f32 v26, v26, v42 :: v_dual_fmac_f32 v59, -0.5, v8
	v_dual_add_f32 v11, v11, v35 :: v_dual_add_nc_u32 v8, 0x1c00, v50
	s_delay_alu instid0(VALU_DEP_2)
	v_fmamk_f32 v29, v26, 0x3f5db3d7, v59
	v_fmamk_f32 v26, v26, 0xbf5db3d7, v59
	ds_store_2addr_b32 v8, v11, v29 offset0:8 offset1:158
	ds_store_b32 v50, v26 offset:8400
.LBB0_35:
	s_wait_alu 0xfffe
	s_or_b32 exec_lo, exec_lo, s1
	global_wb scope:SCOPE_SE
	s_wait_dscnt 0x0
	s_barrier_signal -1
	s_barrier_wait -1
	global_inv scope:SCOPE_SE
	s_and_saveexec_b32 s0, vcc_lo
	s_cbranch_execz .LBB0_37
; %bb.36:
	v_dual_mov_b32 v44, 0 :: v_dual_lshlrev_b32 v43, 2, v46
	s_delay_alu instid0(VALU_DEP_1) | instskip(NEXT) | instid1(VALU_DEP_1)
	v_lshlrev_b64_e32 v[29:30], 3, v[43:44]
	v_add_co_u32 v35, vcc_lo, s4, v29
	s_wait_alu 0xfffd
	s_delay_alu instid0(VALU_DEP_2)
	v_add_co_ci_u32_e32 v36, vcc_lo, s5, v30, vcc_lo
	s_clause 0x1
	global_load_b128 v[29:32], v[35:36], off offset:3520
	global_load_b128 v[35:38], v[35:36], off offset:3536
	v_lshlrev_b32_e32 v43, 2, v48
	v_add_nc_u32_e32 v8, 0x1000, v53
	v_add_nc_u32_e32 v26, 0x1a00, v53
	;; [unrolled: 1-line block ×4, first 2 shown]
	v_lshlrev_b64_e32 v[39:40], 3, v[43:44]
	v_lshlrev_b32_e32 v43, 2, v47
	v_add_nc_u32_e32 v45, 0x400, v53
	v_add_nc_u32_e32 v101, 0x1600, v53
	s_delay_alu instid0(VALU_DEP_4)
	v_add_co_u32 v50, vcc_lo, s4, v39
	s_wait_alu 0xfffd
	v_add_co_ci_u32_e32 v51, vcc_lo, s5, v40, vcc_lo
	s_clause 0x1
	global_load_b128 v[39:42], v[50:51], off offset:3520
	global_load_b128 v[54:57], v[50:51], off offset:3536
	v_lshlrev_b64_e32 v[50:51], 3, v[43:44]
	v_lshlrev_b32_e32 v43, 2, v95
	v_add_nc_u32_e32 v84, 0x800, v53
	v_add_nc_u32_e32 v103, 0xe00, v53
	s_delay_alu instid0(VALU_DEP_4)
	v_add_co_u32 v50, vcc_lo, s4, v50
	s_wait_alu 0xfffd
	v_add_co_ci_u32_e32 v51, vcc_lo, s5, v51, vcc_lo
	s_clause 0x1
	global_load_b128 v[58:61], v[50:51], off offset:3520
	global_load_b128 v[62:65], v[50:51], off offset:3536
	v_lshlrev_b64_e32 v[50:51], 3, v[43:44]
	v_lshlrev_b32_e32 v43, 2, v94
	s_delay_alu instid0(VALU_DEP_1) | instskip(NEXT) | instid1(VALU_DEP_3)
	v_lshlrev_b64_e32 v[43:44], 3, v[43:44]
	v_add_co_u32 v50, vcc_lo, s4, v50
	s_wait_alu 0xfffd
	s_delay_alu instid0(VALU_DEP_4)
	v_add_co_ci_u32_e32 v51, vcc_lo, s5, v51, vcc_lo
	s_clause 0x1
	global_load_b128 v[66:69], v[50:51], off offset:3520
	global_load_b128 v[70:73], v[50:51], off offset:3536
	v_add_co_u32 v43, vcc_lo, s4, v43
	s_wait_alu 0xfffd
	v_add_co_ci_u32_e32 v44, vcc_lo, s5, v44, vcc_lo
	s_clause 0x1
	global_load_b128 v[74:77], v[43:44], off offset:3520
	global_load_b128 v[78:81], v[43:44], off offset:3536
	ds_load_2addr_b32 v[43:44], v8 offset0:146 offset1:236
	ds_load_2addr_b32 v[50:51], v26 offset0:46 offset1:136
	ds_load_2addr_b32 v[82:83], v11 offset0:42 offset1:132
	ds_load_2addr_b32 v[95:96], v33 offset0:22 offset1:112
	v_add_nc_u32_e32 v8, 0x1c00, v53
	ds_load_2addr_b32 v[97:98], v53 offset1:180
	v_add_nc_u32_e32 v11, 0x600, v53
	v_add_nc_u32_e32 v26, 0x1400, v53
	ds_load_b32 v33, v49
	ds_load_2addr_b32 v[52:53], v45 offset0:14 offset1:104
	ds_load_2addr_b32 v[99:100], v84 offset0:118 offset1:208
	;; [unrolled: 1-line block ×7, first 2 shown]
	s_wait_loadcnt 0x9
	v_dual_mul_f32 v8, v7, v32 :: v_dual_mul_f32 v11, v14, v30
	s_wait_loadcnt 0x8
	v_dual_mul_f32 v26, v16, v36 :: v_dual_mul_f32 v45, v5, v38
	s_wait_dscnt 0xc
	v_mul_f32_e32 v32, v44, v32
	s_wait_dscnt 0xb
	v_mul_f32_e32 v36, v50, v36
	s_wait_dscnt 0xa
	v_mul_f32_e32 v30, v82, v30
	s_wait_dscnt 0x9
	v_mul_f32_e32 v38, v96, v38
	v_fma_f32 v8, v31, v44, -v8
	v_fma_f32 v11, v29, v82, -v11
	;; [unrolled: 1-line block ×4, first 2 shown]
	v_fmac_f32_e32 v32, v7, v31
	v_fmac_f32_e32 v36, v16, v35
	;; [unrolled: 1-line block ×3, first 2 shown]
	s_delay_alu instid0(VALU_DEP_4)
	v_dual_fmac_f32 v38, v5, v37 :: v_dual_add_f32 v49, v11, v44
	v_add_f32_e32 v82, v8, v26
	s_wait_loadcnt_dscnt 0x706
	v_dual_add_f32 v84, v11, v53 :: v_dual_mul_f32 v5, v6, v42
	s_wait_loadcnt_dscnt 0x604
	v_mul_f32_e32 v31, v102, v55
	v_dual_mul_f32 v7, v10, v40 :: v_dual_mul_f32 v14, v21, v55
	v_dual_mul_f32 v16, v4, v57 :: v_dual_mul_f32 v29, v43, v42
	v_mul_f32_e32 v35, v100, v40
	v_dual_mul_f32 v37, v95, v57 :: v_dual_sub_f32 v40, v8, v11
	v_sub_f32_e32 v42, v26, v44
	v_dual_sub_f32 v45, v32, v36 :: v_dual_sub_f32 v50, v30, v38
	v_sub_f32_e32 v55, v11, v8
	v_sub_f32_e32 v57, v44, v26
	v_dual_sub_f32 v96, v32, v30 :: v_dual_sub_f32 v115, v38, v36
	v_dual_sub_f32 v111, v36, v38 :: v_dual_sub_f32 v112, v11, v44
	v_dual_add_f32 v11, v30, v38 :: v_dual_add_f32 v116, v32, v36
	v_dual_sub_f32 v113, v8, v26 :: v_dual_sub_f32 v114, v30, v32
	v_dual_add_f32 v30, v28, v30 :: v_dual_fmac_f32 v29, v6, v41
	v_fma_f32 v43, v41, v43, -v5
	v_fma_f32 v100, v39, v100, -v7
	;; [unrolled: 1-line block ×4, first 2 shown]
	v_fmac_f32_e32 v31, v21, v54
	s_wait_loadcnt 0x5
	v_dual_fmac_f32 v35, v10, v39 :: v_dual_mul_f32 v10, v25, v61
	v_dual_fmac_f32 v37, v4, v56 :: v_dual_mul_f32 v14, v9, v59
	s_wait_loadcnt 0x4
	v_mul_f32_e32 v21, v20, v63
	v_dual_mul_f32 v39, v23, v65 :: v_dual_mul_f32 v54, v101, v63
	s_wait_dscnt 0x3
	v_dual_mul_f32 v41, v104, v61 :: v_dual_mul_f32 v56, v99, v59
	s_wait_dscnt 0x2
	v_dual_mul_f32 v59, v106, v65 :: v_dual_add_f32 v40, v40, v42
	v_fma_f32 v5, -0.5, v49, v53
	v_add_f32_e32 v42, v55, v57
	v_fma_f32 v7, -0.5, v82, v53
	v_dual_add_f32 v8, v8, v84 :: v_dual_add_f32 v53, v114, v115
	v_add_f32_e32 v49, v96, v111
	v_fma_f32 v4, -0.5, v11, v28
	v_fma_f32 v6, -0.5, v116, v28
	v_dual_add_f32 v28, v32, v30 :: v_dual_sub_f32 v55, v29, v31
	v_sub_f32_e32 v30, v43, v100
	v_sub_f32_e32 v32, v102, v16
	v_dual_add_f32 v57, v100, v16 :: v_dual_add_f32 v82, v43, v102
	v_dual_sub_f32 v61, v35, v37 :: v_dual_add_f32 v84, v100, v52
	v_dual_sub_f32 v63, v100, v43 :: v_dual_sub_f32 v96, v31, v37
	v_dual_sub_f32 v65, v16, v102 :: v_dual_sub_f32 v116, v37, v31
	;; [unrolled: 1-line block ×3, first 2 shown]
	v_dual_add_f32 v111, v35, v37 :: v_dual_fmac_f32 v54, v20, v62
	v_dual_sub_f32 v114, v43, v102 :: v_dual_add_f32 v117, v29, v31
	v_dual_sub_f32 v115, v35, v29 :: v_dual_fmac_f32 v56, v9, v58
	v_add_f32_e32 v35, v27, v35
	v_fma_f32 v104, v60, v104, -v10
	v_fma_f32 v14, v58, v99, -v14
	;; [unrolled: 1-line block ×4, first 2 shown]
	s_wait_loadcnt 0x2
	v_dual_fmac_f32 v41, v25, v60 :: v_dual_mul_f32 v58, v19, v71
	s_wait_dscnt 0x0
	v_dual_fmac_f32 v59, v23, v64 :: v_dual_mul_f32 v64, v110, v71
	v_dual_mul_f32 v23, v24, v69 :: v_dual_fmamk_f32 v10, v113, 0xbf737871, v4
	v_dual_mul_f32 v39, v13, v67 :: v_dual_mul_f32 v62, v103, v69
	v_dual_mul_f32 v60, v22, v73 :: v_dual_mul_f32 v67, v108, v67
	v_fmac_f32_e32 v4, 0x3f737871, v113
	v_mul_f32_e32 v69, v105, v73
	v_dual_fmamk_f32 v11, v45, 0x3f737871, v5 :: v_dual_add_f32 v28, v28, v36
	v_fmac_f32_e32 v5, 0xbf737871, v45
	v_fmamk_f32 v9, v50, 0xbf737871, v7
	v_fmac_f32_e32 v7, 0x3f737871, v50
	v_dual_add_f32 v71, v26, v8 :: v_dual_fmamk_f32 v8, v112, 0x3f737871, v6
	v_fmac_f32_e32 v6, 0xbf737871, v112
	v_add_f32_e32 v73, v30, v32
	v_fma_f32 v21, -0.5, v57, v52
	v_add_f32_e32 v57, v63, v65
	v_fma_f32 v26, -0.5, v82, v52
	v_sub_f32_e32 v82, v14, v104
	v_add_f32_e32 v30, v43, v84
	v_dual_add_f32 v43, v95, v96 :: v_dual_add_f32 v36, v14, v101
	v_fma_f32 v20, -0.5, v111, v27
	v_add_f32_e32 v52, v115, v116
	v_fma_f32 v25, -0.5, v117, v27
	v_dual_add_f32 v29, v29, v35 :: v_dual_add_f32 v96, v14, v98
	v_dual_sub_f32 v32, v104, v14 :: v_dual_sub_f32 v35, v99, v101
	v_sub_f32_e32 v106, v41, v56
	v_dual_sub_f32 v63, v41, v54 :: v_dual_add_f32 v116, v56, v59
	v_dual_sub_f32 v65, v56, v59 :: v_dual_add_f32 v120, v41, v54
	v_add_f32_e32 v95, v104, v99
	v_dual_sub_f32 v111, v54, v59 :: v_dual_sub_f32 v118, v56, v41
	v_dual_sub_f32 v117, v104, v99 :: v_dual_fmac_f32 v64, v19, v70
	v_add_f32_e32 v56, v3, v56
	v_fma_f32 v103, v68, v103, -v23
	v_fma_f32 v39, v66, v108, -v39
	;; [unrolled: 1-line block ×4, first 2 shown]
	s_wait_loadcnt 0x0
	v_dual_fmac_f32 v67, v13, v66 :: v_dual_mul_f32 v66, v18, v79
	v_dual_mul_f32 v19, v15, v77 :: v_dual_sub_f32 v84, v101, v99
	v_dual_sub_f32 v115, v14, v101 :: v_dual_fmac_f32 v62, v24, v68
	v_dual_sub_f32 v119, v59, v54 :: v_dual_mul_f32 v24, v12, v75
	v_dual_fmac_f32 v69, v22, v72 :: v_dual_mul_f32 v68, v17, v81
	v_dual_mul_f32 v70, v83, v77 :: v_dual_fmac_f32 v11, 0xbf167918, v50
	v_mul_f32_e32 v72, v109, v79
	v_dual_mul_f32 v75, v107, v75 :: v_dual_fmac_f32 v10, 0x3f167918, v112
	v_dual_mul_f32 v77, v51, v81 :: v_dual_add_f32 v14, v44, v71
	v_dual_fmac_f32 v5, 0x3f167918, v50 :: v_dual_fmac_f32 v8, 0x3f167918, v113
	v_dual_fmac_f32 v9, 0xbf167918, v45 :: v_dual_fmac_f32 v4, 0xbf167918, v112
	v_fmac_f32_e32 v7, 0x3f167918, v45
	v_dual_fmac_f32 v6, 0xbf167918, v113 :: v_dual_add_f32 v13, v28, v38
	v_dual_fmamk_f32 v28, v55, 0x3f737871, v21 :: v_dual_add_f32 v45, v32, v35
	v_dual_fmac_f32 v21, 0xbf737871, v55 :: v_dual_sub_f32 v50, v58, v60
	v_fmamk_f32 v23, v61, 0xbf737871, v26
	v_dual_fmac_f32 v26, 0x3f737871, v61 :: v_dual_add_f32 v71, v82, v84
	v_add_f32_e32 v38, v102, v30
	v_dual_fmamk_f32 v27, v114, 0xbf737871, v20 :: v_dual_add_f32 v44, v29, v31
	v_dual_fmac_f32 v20, 0x3f737871, v114 :: v_dual_add_f32 v35, v104, v96
	v_dual_fmamk_f32 v22, v100, 0x3f737871, v25 :: v_dual_add_f32 v79, v106, v111
	v_dual_fmac_f32 v25, 0xbf737871, v100 :: v_dual_sub_f32 v84, v67, v69
	v_fma_f32 v29, -0.5, v116, v3
	v_fma_f32 v31, -0.5, v120, v3
	v_dual_add_f32 v3, v41, v56 :: v_dual_sub_f32 v96, v60, v58
	v_dual_sub_f32 v41, v103, v39 :: v_dual_add_f32 v112, v62, v64
	v_dual_add_f32 v102, v39, v33 :: v_dual_sub_f32 v111, v69, v64
	v_fma_f32 v19, v76, v83, -v19
	v_fma_f32 v66, v78, v109, -v66
	v_fma_f32 v30, -0.5, v36, v98
	v_fma_f32 v32, -0.5, v95, v98
	v_dual_add_f32 v81, v118, v119 :: v_dual_add_f32 v82, v39, v60
	v_dual_sub_f32 v56, v62, v64 :: v_dual_sub_f32 v95, v39, v103
	v_fmac_f32_e32 v72, v18, v78
	v_dual_add_f32 v98, v103, v58 :: v_dual_sub_f32 v105, v64, v69
	v_sub_f32_e32 v104, v62, v67
	v_sub_f32_e32 v106, v39, v60
	v_add_f32_e32 v39, v67, v69
	v_dual_sub_f32 v108, v103, v58 :: v_dual_fmac_f32 v77, v17, v80
	v_dual_sub_f32 v110, v67, v62 :: v_dual_fmac_f32 v11, 0x3e9e377a, v40
	v_add_f32_e32 v67, v34, v67
	v_fma_f32 v24, v74, v107, -v24
	v_fma_f32 v51, v80, v51, -v68
	v_dual_fmac_f32 v70, v15, v76 :: v_dual_fmac_f32 v75, v12, v74
	v_dual_fmac_f32 v5, 0x3e9e377a, v40 :: v_dual_fmac_f32 v10, 0x3e9e377a, v49
	;; [unrolled: 1-line block ×3, first 2 shown]
	v_dual_fmac_f32 v6, 0x3e9e377a, v53 :: v_dual_add_f32 v3, v3, v54
	v_dual_fmac_f32 v28, 0xbf167918, v61 :: v_dual_fmac_f32 v23, 0xbf167918, v55
	v_dual_fmac_f32 v21, 0x3f167918, v61 :: v_dual_fmac_f32 v26, 0x3f167918, v55
	;; [unrolled: 1-line block ×3, first 2 shown]
	v_dual_fmac_f32 v22, 0x3f167918, v114 :: v_dual_add_f32 v15, v44, v37
	v_dual_add_f32 v12, v99, v35 :: v_dual_add_f32 v49, v41, v50
	v_dual_add_f32 v41, v103, v102 :: v_dual_add_f32 v50, v62, v67
	v_dual_add_f32 v80, v19, v66 :: v_dual_fmac_f32 v23, 0x3e9e377a, v57
	v_dual_fmac_f32 v7, 0x3e9e377a, v42 :: v_dual_fmac_f32 v8, 0x3e9e377a, v53
	v_dual_add_f32 v16, v16, v38 :: v_dual_fmac_f32 v27, 0x3f167918, v100
	v_fma_f32 v38, -0.5, v82, v33
	v_fma_f32 v40, -0.5, v98, v33
	v_dual_add_f32 v61, v104, v105 :: v_dual_sub_f32 v54, v66, v51
	v_dual_sub_f32 v53, v19, v24 :: v_dual_sub_f32 v76, v24, v19
	v_dual_sub_f32 v62, v70, v72 :: v_dual_add_f32 v67, v24, v51
	v_dual_sub_f32 v74, v75, v77 :: v_dual_fmac_f32 v27, 0x3e9e377a, v43
	v_dual_fmac_f32 v28, 0x3e9e377a, v73 :: v_dual_fmac_f32 v25, 0x3e9e377a, v52
	v_dual_fmac_f32 v26, 0x3e9e377a, v57 :: v_dual_add_f32 v33, v3, v59
	v_dual_fmac_f32 v20, 0x3e9e377a, v43 :: v_dual_add_f32 v3, v58, v41
	;; [unrolled: 1-line block ×3, first 2 shown]
	v_fma_f32 v52, -0.5, v80, v97
	v_fmamk_f32 v36, v63, 0x3f737871, v30
	v_dual_fmac_f32 v30, 0xbf737871, v63 :: v_dual_fmamk_f32 v35, v117, 0xbf737871, v29
	v_fma_f32 v37, -0.5, v39, v34
	v_fma_f32 v39, -0.5, v112, v34
	v_dual_sub_f32 v78, v51, v66 :: v_dual_fmac_f32 v21, 0x3e9e377a, v73
	s_delay_alu instid0(VALU_DEP_3) | instskip(SKIP_2) | instid1(VALU_DEP_4)
	v_dual_add_f32 v34, v101, v12 :: v_dual_fmamk_f32 v41, v108, 0xbf737871, v37
	v_dual_fmamk_f32 v42, v56, 0x3f737871, v38 :: v_dual_fmac_f32 v37, 0x3f737871, v108
	v_fmac_f32_e32 v38, 0xbf737871, v56
	v_dual_add_f32 v12, v50, v64 :: v_dual_add_f32 v59, v76, v78
	v_fma_f32 v50, -0.5, v67, v97
	v_add_f32_e32 v54, v60, v3
	v_dual_fmamk_f32 v58, v74, 0xbf737871, v52 :: v_dual_add_f32 v3, v24, v97
	v_fmamk_f32 v44, v84, 0xbf737871, v40
	v_dual_fmac_f32 v40, 0x3f737871, v84 :: v_dual_fmamk_f32 v43, v106, 0x3f737871, v39
	v_fmac_f32_e32 v29, 0x3f737871, v117
	v_fmac_f32_e32 v36, 0xbf167918, v65
	v_dual_fmac_f32 v30, 0x3f167918, v65 :: v_dual_fmac_f32 v35, 0x3f167918, v115
	v_fmac_f32_e32 v39, 0xbf737871, v106
	v_dual_fmac_f32 v42, 0xbf167918, v84 :: v_dual_fmac_f32 v37, 0xbf167918, v106
	v_dual_fmac_f32 v38, 0x3f167918, v84 :: v_dual_fmac_f32 v41, 0x3f167918, v106
	v_add_f32_e32 v53, v12, v69
	v_dual_add_f32 v3, v19, v3 :: v_dual_fmac_f32 v44, 0xbf167918, v56
	v_fmac_f32_e32 v40, 0x3f167918, v56
	v_fmamk_f32 v56, v62, 0x3f737871, v50
	v_fmac_f32_e32 v50, 0xbf737871, v62
	v_sub_f32_e32 v24, v24, v51
	v_add_f32_e32 v12, v75, v77
	v_dual_add_f32 v55, v95, v96 :: v_dual_add_f32 v68, v110, v111
	v_fmac_f32_e32 v29, 0xbf167918, v115
	v_dual_fmac_f32 v36, 0x3e9e377a, v45 :: v_dual_fmac_f32 v35, 0x3e9e377a, v79
	v_fmac_f32_e32 v30, 0x3e9e377a, v45
	v_fmac_f32_e32 v43, 0x3f167918, v108
	s_delay_alu instid0(VALU_DEP_4)
	v_dual_fmac_f32 v29, 0x3e9e377a, v79 :: v_dual_fmac_f32 v42, 0x3e9e377a, v49
	v_sub_f32_e32 v45, v72, v77
	v_dual_fmac_f32 v39, 0xbf167918, v108 :: v_dual_fmac_f32 v56, 0xbf167918, v74
	v_fmac_f32_e32 v38, 0x3e9e377a, v49
	v_fma_f32 v49, -0.5, v12, v2
	v_dual_sub_f32 v12, v19, v66 :: v_dual_sub_f32 v19, v70, v75
	v_dual_fmac_f32 v50, 0x3f167918, v74 :: v_dual_add_f32 v3, v66, v3
	v_fmac_f32_e32 v56, 0x3e9e377a, v57
	s_delay_alu instid0(VALU_DEP_3) | instskip(NEXT) | instid1(VALU_DEP_3)
	v_dual_fmac_f32 v58, 0xbf167918, v62 :: v_dual_add_f32 v19, v19, v45
	v_dual_fmac_f32 v50, 0x3e9e377a, v57 :: v_dual_sub_f32 v45, v75, v70
	v_dual_add_f32 v57, v70, v72 :: v_dual_fmac_f32 v52, 0x3f737871, v74
	v_add_f32_e32 v3, v51, v3
	v_dual_fmac_f32 v44, 0x3e9e377a, v55 :: v_dual_fmac_f32 v41, 0x3e9e377a, v61
	s_delay_alu instid0(VALU_DEP_3)
	v_fma_f32 v51, -0.5, v57, v2
	v_dual_fmac_f32 v40, 0x3e9e377a, v55 :: v_dual_fmac_f32 v37, 0x3e9e377a, v61
	v_dual_fmac_f32 v58, 0x3e9e377a, v59 :: v_dual_sub_f32 v61, v77, v72
	v_fmamk_f32 v55, v12, 0xbf737871, v49
	v_fmac_f32_e32 v49, 0x3f737871, v12
	v_fmac_f32_e32 v52, 0x3f167918, v62
	v_fmamk_f32 v57, v24, 0x3f737871, v51
	v_add_f32_e32 v45, v45, v61
	v_fmamk_f32 v18, v65, 0xbf737871, v32
	v_fmac_f32_e32 v49, 0xbf167918, v24
	v_dual_fmac_f32 v32, 0x3f737871, v65 :: v_dual_fmamk_f32 v17, v115, 0x3f737871, v31
	v_fmac_f32_e32 v57, 0x3f167918, v12
	v_fmac_f32_e32 v52, 0x3e9e377a, v59
	v_mad_co_u64_u32 v[59:60], null, s8, v94, 0
	v_fmac_f32_e32 v55, 0x3f167918, v24
	s_delay_alu instid0(VALU_DEP_4) | instskip(SKIP_3) | instid1(VALU_DEP_3)
	v_fmac_f32_e32 v57, 0x3e9e377a, v45
	v_dual_fmac_f32 v51, 0xbf737871, v24 :: v_dual_add_f32 v24, v2, v75
	v_fmac_f32_e32 v31, 0xbf737871, v115
	v_fmac_f32_e32 v18, 0xbf167918, v63
	v_dual_mov_b32 v2, v60 :: v_dual_fmac_f32 v51, 0xbf167918, v12
	s_delay_alu instid0(VALU_DEP_4) | instskip(SKIP_1) | instid1(VALU_DEP_3)
	v_add_f32_e32 v12, v70, v24
	v_dual_fmac_f32 v32, 0x3f167918, v63 :: v_dual_fmac_f32 v17, 0x3f167918, v117
	v_mad_co_u64_u32 v[60:61], null, s9, v94, v[2:3]
	v_mad_co_u64_u32 v[61:62], null, s8, v93, 0
	s_delay_alu instid0(VALU_DEP_4) | instskip(SKIP_2) | instid1(VALU_DEP_3)
	v_dual_add_f32 v2, v12, v72 :: v_dual_fmac_f32 v55, 0x3e9e377a, v19
	v_fmac_f32_e32 v49, 0x3e9e377a, v19
	v_mad_co_u64_u32 v[63:64], null, s8, v92, 0
	v_add_f32_e32 v2, v2, v77
	v_dual_mov_b32 v12, v62 :: v_dual_fmac_f32 v51, 0x3e9e377a, v45
	v_add_co_u32 v45, vcc_lo, s10, v0
	v_fmac_f32_e32 v31, 0xbf167918, v117
	v_dual_fmac_f32 v18, 0x3e9e377a, v71 :: v_dual_fmac_f32 v17, 0x3e9e377a, v81
	v_fmac_f32_e32 v32, 0x3e9e377a, v71
	s_wait_alu 0xfffd
	v_add_co_ci_u32_e32 v71, vcc_lo, s11, v1, vcc_lo
	v_fmac_f32_e32 v31, 0x3e9e377a, v81
	v_lshlrev_b64_e32 v[0:1], 3, v[59:60]
	v_mad_co_u64_u32 v[59:60], null, s9, v93, v[12:13]
	v_mad_co_u64_u32 v[65:66], null, s8, v90, 0
	v_dual_mov_b32 v12, v64 :: v_dual_fmac_f32 v43, 0x3e9e377a, v68
	v_fmac_f32_e32 v39, 0x3e9e377a, v68
	v_mad_co_u64_u32 v[67:68], null, s8, v91, 0
	v_add_co_u32 v0, vcc_lo, v45, v0
	s_wait_alu 0xfffd
	v_add_co_ci_u32_e32 v1, vcc_lo, v71, v1, vcc_lo
	v_mov_b32_e32 v62, v59
	v_mad_co_u64_u32 v[59:60], null, s9, v92, v[12:13]
	v_mov_b32_e32 v12, v66
	global_store_b64 v[0:1], v[2:3], off
	v_lshlrev_b64_e32 v[1:2], 3, v[61:62]
	v_mov_b32_e32 v0, v68
	v_mad_co_u64_u32 v[60:61], null, s9, v90, v[12:13]
	v_mov_b32_e32 v64, v59
	s_delay_alu instid0(VALU_DEP_3)
	v_mad_co_u64_u32 v[61:62], null, s9, v91, v[0:1]
	v_add_co_u32 v0, vcc_lo, v45, v1
	s_wait_alu 0xfffd
	v_add_co_ci_u32_e32 v1, vcc_lo, v71, v2, vcc_lo
	v_mov_b32_e32 v66, v60
	v_mad_co_u64_u32 v[59:60], null, s8, v88, 0
	v_mov_b32_e32 v68, v61
	v_lshlrev_b64_e32 v[2:3], 3, v[63:64]
	s_delay_alu instid0(VALU_DEP_4) | instskip(SKIP_1) | instid1(VALU_DEP_4)
	v_lshlrev_b64_e32 v[61:62], 3, v[65:66]
	v_mad_co_u64_u32 v[65:66], null, s8, v89, 0
	v_lshlrev_b64_e32 v[63:64], 3, v[67:68]
	v_mov_b32_e32 v12, v60
	v_add_co_u32 v2, vcc_lo, v45, v2
	s_wait_alu 0xfffd
	v_add_co_ci_u32_e32 v3, vcc_lo, v71, v3, vcc_lo
	s_delay_alu instid0(VALU_DEP_3) | instskip(SKIP_4) | instid1(VALU_DEP_3)
	v_mad_co_u64_u32 v[67:68], null, s9, v88, v[12:13]
	v_mov_b32_e32 v12, v66
	v_add_co_u32 v61, vcc_lo, v45, v61
	s_wait_alu 0xfffd
	v_add_co_ci_u32_e32 v62, vcc_lo, v71, v62, vcc_lo
	v_mad_co_u64_u32 v[68:69], null, s9, v89, v[12:13]
	v_mad_co_u64_u32 v[69:70], null, s8, v87, 0
	v_add_co_u32 v63, vcc_lo, v45, v63
	s_wait_alu 0xfffd
	v_add_co_ci_u32_e32 v64, vcc_lo, v71, v64, vcc_lo
	v_mov_b32_e32 v60, v67
	s_clause 0x3
	global_store_b64 v[0:1], v[51:52], off
	global_store_b64 v[2:3], v[49:50], off
	;; [unrolled: 1-line block ×4, first 2 shown]
	v_mov_b32_e32 v2, v70
	v_mov_b32_e32 v66, v68
	v_mad_co_u64_u32 v[49:50], null, s8, v86, 0
	v_lshlrev_b64_e32 v[0:1], 3, v[59:60]
	s_delay_alu instid0(VALU_DEP_4) | instskip(NEXT) | instid1(VALU_DEP_4)
	v_mad_co_u64_u32 v[2:3], null, s9, v87, v[2:3]
	v_lshlrev_b64_e32 v[51:52], 3, v[65:66]
	v_mul_hi_u32 v12, 0x91a2b3c5, v47
	v_mad_co_u64_u32 v[55:56], null, s8, v85, 0
	v_add_co_u32 v0, vcc_lo, v45, v0
	s_wait_alu 0xfffd
	v_add_co_ci_u32_e32 v1, vcc_lo, v71, v1, vcc_lo
	v_mov_b32_e32 v3, v50
	v_add_co_u32 v50, vcc_lo, v45, v51
	v_mov_b32_e32 v70, v2
	s_wait_alu 0xfffd
	v_add_co_ci_u32_e32 v51, vcc_lo, v71, v52, vcc_lo
	v_mad_co_u64_u32 v[57:58], null, s9, v86, v[3:4]
	v_lshrrev_b32_e32 v3, 8, v12
	s_clause 0x1
	global_store_b64 v[0:1], v[53:54], off
	global_store_b64 v[50:51], v[39:40], off
	v_lshlrev_b64_e32 v[1:2], 3, v[69:70]
	v_mov_b32_e32 v0, v56
	v_mad_u32_u24 v19, 0x708, v3, v47
	v_mov_b32_e32 v50, v57
	s_delay_alu instid0(VALU_DEP_3) | instskip(NEXT) | instid1(VALU_DEP_3)
	v_mad_co_u64_u32 v[39:40], null, s9, v85, v[0:1]
	v_mad_co_u64_u32 v[51:52], null, s8, v19, 0
	v_add_nc_u32_e32 v24, 0x1c2, v19
	v_add_co_u32 v0, vcc_lo, v45, v1
	s_wait_alu 0xfffd
	v_add_co_ci_u32_e32 v1, vcc_lo, v71, v2, vcc_lo
	v_mov_b32_e32 v56, v39
	v_mad_co_u64_u32 v[39:40], null, s8, v24, 0
	v_mov_b32_e32 v12, v52
	v_lshlrev_b64_e32 v[2:3], 3, v[49:50]
	v_add_nc_u32_e32 v47, 0x384, v19
	v_lshlrev_b64_e32 v[49:50], 3, v[55:56]
	s_delay_alu instid0(VALU_DEP_4) | instskip(SKIP_4) | instid1(VALU_DEP_3)
	v_mad_co_u64_u32 v[52:53], null, s9, v19, v[12:13]
	v_mov_b32_e32 v12, v40
	v_add_co_u32 v2, vcc_lo, v45, v2
	s_wait_alu 0xfffd
	v_add_co_ci_u32_e32 v3, vcc_lo, v71, v3, vcc_lo
	v_mad_co_u64_u32 v[53:54], null, s9, v24, v[12:13]
	v_mad_co_u64_u32 v[54:55], null, s8, v47, 0
	v_add_co_u32 v49, vcc_lo, v45, v49
	s_wait_alu 0xfffd
	v_add_co_ci_u32_e32 v50, vcc_lo, v71, v50, vcc_lo
	v_add_nc_u32_e32 v12, 0x546, v19
	s_clause 0x2
	global_store_b64 v[0:1], v[37:38], off
	global_store_b64 v[2:3], v[41:42], off
	;; [unrolled: 1-line block ×3, first 2 shown]
	v_mov_b32_e32 v2, v55
	v_mov_b32_e32 v40, v53
	v_lshlrev_b64_e32 v[0:1], 3, v[51:52]
	v_mad_co_u64_u32 v[37:38], null, s8, v12, 0
	s_delay_alu instid0(VALU_DEP_4) | instskip(NEXT) | instid1(VALU_DEP_4)
	v_mad_co_u64_u32 v[2:3], null, s9, v47, v[2:3]
	v_lshlrev_b64_e32 v[39:40], 3, v[39:40]
	v_add_nc_u32_e32 v19, 0x708, v19
	v_add_co_u32 v0, vcc_lo, v45, v0
	s_wait_alu 0xfffd
	v_add_co_ci_u32_e32 v1, vcc_lo, v71, v1, vcc_lo
	s_delay_alu instid0(VALU_DEP_3)
	v_mad_co_u64_u32 v[41:42], null, s8, v19, 0
	v_mul_hi_u32 v24, 0x91a2b3c5, v48
	v_mov_b32_e32 v3, v38
	v_add_co_u32 v38, vcc_lo, v45, v39
	v_mov_b32_e32 v55, v2
	s_wait_alu 0xfffd
	v_add_co_ci_u32_e32 v39, vcc_lo, v71, v40, vcc_lo
	v_mad_co_u64_u32 v[43:44], null, s9, v12, v[3:4]
	s_clause 0x1
	global_store_b64 v[0:1], v[33:34], off
	global_store_b64 v[38:39], v[31:32], off
	v_lshlrev_b64_e32 v[1:2], 3, v[54:55]
	v_lshrrev_b32_e32 v3, 8, v24
	v_mov_b32_e32 v0, v42
	v_mov_b32_e32 v38, v43
	s_delay_alu instid0(VALU_DEP_3) | instskip(NEXT) | instid1(VALU_DEP_3)
	v_mad_u32_u24 v24, 0x708, v3, v48
	v_mad_co_u64_u32 v[31:32], null, s9, v19, v[0:1]
	v_add_co_u32 v0, vcc_lo, v45, v1
	s_delay_alu instid0(VALU_DEP_3)
	v_mad_co_u64_u32 v[32:33], null, s8, v24, 0
	v_add_nc_u32_e32 v19, 0x1c2, v24
	s_wait_alu 0xfffd
	v_add_co_ci_u32_e32 v1, vcc_lo, v71, v2, vcc_lo
	v_lshlrev_b64_e32 v[2:3], 3, v[37:38]
	v_mov_b32_e32 v42, v31
	v_mad_co_u64_u32 v[37:38], null, s8, v19, 0
	v_dual_mov_b32 v12, v33 :: v_dual_add_nc_u32 v31, 0x546, v24
	s_delay_alu instid0(VALU_DEP_4) | instskip(NEXT) | instid1(VALU_DEP_4)
	v_add_co_u32 v2, vcc_lo, v45, v2
	v_lshlrev_b64_e32 v[33:34], 3, v[41:42]
	s_wait_alu 0xfffd
	v_add_co_ci_u32_e32 v3, vcc_lo, v71, v3, vcc_lo
	s_clause 0x1
	global_store_b64 v[0:1], v[29:30], off
	global_store_b64 v[2:3], v[35:36], off
	v_mov_b32_e32 v0, v38
	v_add_co_u32 v1, vcc_lo, v45, v33
	s_wait_alu 0xfffd
	v_add_co_ci_u32_e32 v2, vcc_lo, v71, v34, vcc_lo
	v_mad_co_u64_u32 v[39:40], null, s9, v24, v[12:13]
	s_delay_alu instid0(VALU_DEP_3)
	v_mad_co_u64_u32 v[29:30], null, s9, v19, v[0:1]
	v_add_nc_u32_e32 v19, 0x384, v24
	global_store_b64 v[1:2], v[17:18], off
	v_mad_co_u64_u32 v[17:18], null, s8, v31, 0
	v_mov_b32_e32 v33, v39
	v_mad_co_u64_u32 v[2:3], null, s8, v19, 0
	v_mov_b32_e32 v38, v29
	v_add_nc_u32_e32 v24, 0x708, v24
	s_delay_alu instid0(VALU_DEP_4) | instskip(SKIP_1) | instid1(VALU_DEP_4)
	v_lshlrev_b64_e32 v[0:1], 3, v[32:33]
	v_mov_b32_e32 v12, v18
	v_lshlrev_b64_e32 v[29:30], 3, v[37:38]
	v_mad_co_u64_u32 v[18:19], null, s9, v19, v[3:4]
	s_delay_alu instid0(VALU_DEP_3)
	v_mad_co_u64_u32 v[31:32], null, s9, v31, v[12:13]
	v_add_co_u32 v0, vcc_lo, v45, v0
	v_mad_co_u64_u32 v[32:33], null, s8, v24, 0
	v_mul_hi_u32 v12, 0x91a2b3c5, v46
	s_wait_alu 0xfffd
	v_add_co_ci_u32_e32 v1, vcc_lo, v71, v1, vcc_lo
	v_dual_mov_b32 v3, v18 :: v_dual_mov_b32 v18, v31
	v_add_co_u32 v29, vcc_lo, v45, v29
	global_store_b64 v[0:1], v[15:16], off
	v_lshlrev_b64_e32 v[1:2], 3, v[2:3]
	s_wait_alu 0xfffd
	v_add_co_ci_u32_e32 v30, vcc_lo, v71, v30, vcc_lo
	v_mov_b32_e32 v0, v33
	v_lshrrev_b32_e32 v3, 8, v12
	v_lshlrev_b64_e32 v[15:16], 3, v[17:18]
	global_store_b64 v[29:30], v[25:26], off
	v_mad_co_u64_u32 v[17:18], null, s9, v24, v[0:1]
	v_add_co_u32 v0, vcc_lo, v45, v1
	v_mad_u32_u24 v26, 0x708, v3, v46
	s_wait_alu 0xfffd
	v_add_co_ci_u32_e32 v1, vcc_lo, v71, v2, vcc_lo
	v_add_co_u32 v2, vcc_lo, v45, v15
	s_wait_alu 0xfffd
	v_add_co_ci_u32_e32 v3, vcc_lo, v71, v16, vcc_lo
	v_mad_co_u64_u32 v[15:16], null, s8, v26, 0
	global_store_b64 v[0:1], v[20:21], off
	v_add_nc_u32_e32 v21, 0x1c2, v26
	global_store_b64 v[2:3], v[27:28], off
	v_add_nc_u32_e32 v27, 0x384, v26
	v_dual_mov_b32 v33, v17 :: v_dual_mov_b32 v12, v16
	v_mad_co_u64_u32 v[2:3], null, s8, v21, 0
	s_delay_alu instid0(VALU_DEP_3) | instskip(NEXT) | instid1(VALU_DEP_3)
	v_mad_co_u64_u32 v[17:18], null, s8, v27, 0
	v_lshlrev_b64_e32 v[0:1], 3, v[32:33]
	s_delay_alu instid0(VALU_DEP_4) | instskip(SKIP_4) | instid1(VALU_DEP_4)
	v_mad_co_u64_u32 v[19:20], null, s9, v26, v[12:13]
	v_add_nc_u32_e32 v12, 0x546, v26
	v_mad_co_u64_u32 v[20:21], null, s9, v21, v[3:4]
	v_mov_b32_e32 v3, v18
	v_add_co_u32 v0, vcc_lo, v45, v0
	v_mad_co_u64_u32 v[24:25], null, s8, v12, 0
	v_add_nc_u32_e32 v21, 0x708, v26
	s_wait_alu 0xfffd
	v_add_co_ci_u32_e32 v1, vcc_lo, v71, v1, vcc_lo
	v_mad_co_u64_u32 v[26:27], null, s9, v27, v[3:4]
	s_delay_alu instid0(VALU_DEP_3) | instskip(SKIP_4) | instid1(VALU_DEP_3)
	v_mad_co_u64_u32 v[27:28], null, s8, v21, 0
	global_store_b64 v[0:1], v[22:23], off
	v_dual_mov_b32 v0, v25 :: v_dual_mov_b32 v3, v20
	v_mov_b32_e32 v16, v19
	v_mov_b32_e32 v18, v26
	v_mad_co_u64_u32 v[0:1], null, s9, v12, v[0:1]
	s_delay_alu instid0(VALU_DEP_4) | instskip(SKIP_4) | instid1(VALU_DEP_4)
	v_lshlrev_b64_e32 v[2:3], 3, v[2:3]
	v_mov_b32_e32 v1, v28
	v_lshlrev_b64_e32 v[15:16], 3, v[15:16]
	v_lshlrev_b64_e32 v[17:18], 3, v[17:18]
	v_mov_b32_e32 v25, v0
	v_mad_co_u64_u32 v[19:20], null, s9, v21, v[1:2]
	s_delay_alu instid0(VALU_DEP_4) | instskip(SKIP_3) | instid1(VALU_DEP_4)
	v_add_co_u32 v15, vcc_lo, v45, v15
	s_wait_alu 0xfffd
	v_add_co_ci_u32_e32 v16, vcc_lo, v71, v16, vcc_lo
	v_add_co_u32 v0, vcc_lo, v45, v2
	v_mov_b32_e32 v28, v19
	s_wait_alu 0xfffd
	v_add_co_ci_u32_e32 v1, vcc_lo, v71, v3, vcc_lo
	v_lshlrev_b64_e32 v[2:3], 3, v[24:25]
	v_add_co_u32 v17, vcc_lo, v45, v17
	v_lshlrev_b64_e32 v[19:20], 3, v[27:28]
	s_wait_alu 0xfffd
	v_add_co_ci_u32_e32 v18, vcc_lo, v71, v18, vcc_lo
	s_delay_alu instid0(VALU_DEP_4)
	v_add_co_u32 v2, vcc_lo, v45, v2
	s_wait_alu 0xfffd
	v_add_co_ci_u32_e32 v3, vcc_lo, v71, v3, vcc_lo
	v_add_co_u32 v19, vcc_lo, v45, v19
	s_wait_alu 0xfffd
	v_add_co_ci_u32_e32 v20, vcc_lo, v71, v20, vcc_lo
	s_clause 0x4
	global_store_b64 v[15:16], v[13:14], off
	global_store_b64 v[0:1], v[6:7], off
	;; [unrolled: 1-line block ×5, first 2 shown]
.LBB0_37:
	s_nop 0
	s_sendmsg sendmsg(MSG_DEALLOC_VGPRS)
	s_endpgm
	.section	.rodata,"a",@progbits
	.p2align	6, 0x0
	.amdhsa_kernel fft_rtc_back_len2250_factors_10_3_5_3_5_wgs_90_tpt_90_halfLds_sp_ip_CI_sbrr_dirReg
		.amdhsa_group_segment_fixed_size 0
		.amdhsa_private_segment_fixed_size 0
		.amdhsa_kernarg_size 88
		.amdhsa_user_sgpr_count 2
		.amdhsa_user_sgpr_dispatch_ptr 0
		.amdhsa_user_sgpr_queue_ptr 0
		.amdhsa_user_sgpr_kernarg_segment_ptr 1
		.amdhsa_user_sgpr_dispatch_id 0
		.amdhsa_user_sgpr_private_segment_size 0
		.amdhsa_wavefront_size32 1
		.amdhsa_uses_dynamic_stack 0
		.amdhsa_enable_private_segment 0
		.amdhsa_system_sgpr_workgroup_id_x 1
		.amdhsa_system_sgpr_workgroup_id_y 0
		.amdhsa_system_sgpr_workgroup_id_z 0
		.amdhsa_system_sgpr_workgroup_info 0
		.amdhsa_system_vgpr_workitem_id 0
		.amdhsa_next_free_vgpr 155
		.amdhsa_next_free_sgpr 35
		.amdhsa_reserve_vcc 1
		.amdhsa_float_round_mode_32 0
		.amdhsa_float_round_mode_16_64 0
		.amdhsa_float_denorm_mode_32 3
		.amdhsa_float_denorm_mode_16_64 3
		.amdhsa_fp16_overflow 0
		.amdhsa_workgroup_processor_mode 1
		.amdhsa_memory_ordered 1
		.amdhsa_forward_progress 0
		.amdhsa_round_robin_scheduling 0
		.amdhsa_exception_fp_ieee_invalid_op 0
		.amdhsa_exception_fp_denorm_src 0
		.amdhsa_exception_fp_ieee_div_zero 0
		.amdhsa_exception_fp_ieee_overflow 0
		.amdhsa_exception_fp_ieee_underflow 0
		.amdhsa_exception_fp_ieee_inexact 0
		.amdhsa_exception_int_div_zero 0
	.end_amdhsa_kernel
	.text
.Lfunc_end0:
	.size	fft_rtc_back_len2250_factors_10_3_5_3_5_wgs_90_tpt_90_halfLds_sp_ip_CI_sbrr_dirReg, .Lfunc_end0-fft_rtc_back_len2250_factors_10_3_5_3_5_wgs_90_tpt_90_halfLds_sp_ip_CI_sbrr_dirReg
                                        ; -- End function
	.section	.AMDGPU.csdata,"",@progbits
; Kernel info:
; codeLenInByte = 20376
; NumSgprs: 37
; NumVgprs: 155
; ScratchSize: 0
; MemoryBound: 0
; FloatMode: 240
; IeeeMode: 1
; LDSByteSize: 0 bytes/workgroup (compile time only)
; SGPRBlocks: 4
; VGPRBlocks: 19
; NumSGPRsForWavesPerEU: 37
; NumVGPRsForWavesPerEU: 155
; Occupancy: 9
; WaveLimiterHint : 1
; COMPUTE_PGM_RSRC2:SCRATCH_EN: 0
; COMPUTE_PGM_RSRC2:USER_SGPR: 2
; COMPUTE_PGM_RSRC2:TRAP_HANDLER: 0
; COMPUTE_PGM_RSRC2:TGID_X_EN: 1
; COMPUTE_PGM_RSRC2:TGID_Y_EN: 0
; COMPUTE_PGM_RSRC2:TGID_Z_EN: 0
; COMPUTE_PGM_RSRC2:TIDIG_COMP_CNT: 0
	.text
	.p2alignl 7, 3214868480
	.fill 96, 4, 3214868480
	.type	__hip_cuid_a44e0a580820f604,@object ; @__hip_cuid_a44e0a580820f604
	.section	.bss,"aw",@nobits
	.globl	__hip_cuid_a44e0a580820f604
__hip_cuid_a44e0a580820f604:
	.byte	0                               ; 0x0
	.size	__hip_cuid_a44e0a580820f604, 1

	.ident	"AMD clang version 19.0.0git (https://github.com/RadeonOpenCompute/llvm-project roc-6.4.0 25133 c7fe45cf4b819c5991fe208aaa96edf142730f1d)"
	.section	".note.GNU-stack","",@progbits
	.addrsig
	.addrsig_sym __hip_cuid_a44e0a580820f604
	.amdgpu_metadata
---
amdhsa.kernels:
  - .args:
      - .actual_access:  read_only
        .address_space:  global
        .offset:         0
        .size:           8
        .value_kind:     global_buffer
      - .offset:         8
        .size:           8
        .value_kind:     by_value
      - .actual_access:  read_only
        .address_space:  global
        .offset:         16
        .size:           8
        .value_kind:     global_buffer
      - .actual_access:  read_only
        .address_space:  global
        .offset:         24
        .size:           8
        .value_kind:     global_buffer
      - .offset:         32
        .size:           8
        .value_kind:     by_value
      - .actual_access:  read_only
        .address_space:  global
        .offset:         40
        .size:           8
        .value_kind:     global_buffer
      - .actual_access:  read_only
        .address_space:  global
        .offset:         48
        .size:           8
        .value_kind:     global_buffer
      - .offset:         56
        .size:           4
        .value_kind:     by_value
      - .actual_access:  read_only
        .address_space:  global
        .offset:         64
        .size:           8
        .value_kind:     global_buffer
      - .actual_access:  read_only
        .address_space:  global
        .offset:         72
        .size:           8
        .value_kind:     global_buffer
      - .address_space:  global
        .offset:         80
        .size:           8
        .value_kind:     global_buffer
    .group_segment_fixed_size: 0
    .kernarg_segment_align: 8
    .kernarg_segment_size: 88
    .language:       OpenCL C
    .language_version:
      - 2
      - 0
    .max_flat_workgroup_size: 90
    .name:           fft_rtc_back_len2250_factors_10_3_5_3_5_wgs_90_tpt_90_halfLds_sp_ip_CI_sbrr_dirReg
    .private_segment_fixed_size: 0
    .sgpr_count:     37
    .sgpr_spill_count: 0
    .symbol:         fft_rtc_back_len2250_factors_10_3_5_3_5_wgs_90_tpt_90_halfLds_sp_ip_CI_sbrr_dirReg.kd
    .uniform_work_group_size: 1
    .uses_dynamic_stack: false
    .vgpr_count:     155
    .vgpr_spill_count: 0
    .wavefront_size: 32
    .workgroup_processor_mode: 1
amdhsa.target:   amdgcn-amd-amdhsa--gfx1201
amdhsa.version:
  - 1
  - 2
...

	.end_amdgpu_metadata
